;; amdgpu-corpus repo=ROCm/rocFFT kind=compiled arch=gfx1100 opt=O3
	.text
	.amdgcn_target "amdgcn-amd-amdhsa--gfx1100"
	.amdhsa_code_object_version 6
	.protected	fft_rtc_fwd_len1701_factors_3_3_3_3_3_7_wgs_63_tpt_63_halfLds_dp_op_CI_CI_sbrr_dirReg ; -- Begin function fft_rtc_fwd_len1701_factors_3_3_3_3_3_7_wgs_63_tpt_63_halfLds_dp_op_CI_CI_sbrr_dirReg
	.globl	fft_rtc_fwd_len1701_factors_3_3_3_3_3_7_wgs_63_tpt_63_halfLds_dp_op_CI_CI_sbrr_dirReg
	.p2align	8
	.type	fft_rtc_fwd_len1701_factors_3_3_3_3_3_7_wgs_63_tpt_63_halfLds_dp_op_CI_CI_sbrr_dirReg,@function
fft_rtc_fwd_len1701_factors_3_3_3_3_3_7_wgs_63_tpt_63_halfLds_dp_op_CI_CI_sbrr_dirReg: ; @fft_rtc_fwd_len1701_factors_3_3_3_3_3_7_wgs_63_tpt_63_halfLds_dp_op_CI_CI_sbrr_dirReg
; %bb.0:
	s_clause 0x2
	s_load_b128 s[16:19], s[0:1], 0x18
	s_load_b128 s[4:7], s[0:1], 0x0
	;; [unrolled: 1-line block ×3, first 2 shown]
	v_mul_u32_u24_e32 v1, 0x411, v0
	v_mov_b32_e32 v4, 0
	v_mov_b32_e32 v5, 0
	s_waitcnt lgkmcnt(0)
	s_load_b64 s[20:21], s[16:17], 0x0
	s_load_b64 s[12:13], s[18:19], 0x0
	v_lshrrev_b32_e32 v2, 16, v1
	v_mov_b32_e32 v1, 0
	v_cmp_lt_u64_e64 s2, s[6:7], 2
	s_delay_alu instid0(VALU_DEP_2) | instskip(NEXT) | instid1(VALU_DEP_2)
	v_dual_mov_b32 v7, v1 :: v_dual_add_nc_u32 v6, s15, v2
	s_and_b32 vcc_lo, exec_lo, s2
	s_cbranch_vccnz .LBB0_8
; %bb.1:
	s_load_b64 s[2:3], s[0:1], 0x10
	v_mov_b32_e32 v4, 0
	v_mov_b32_e32 v5, 0
	s_add_u32 s14, s18, 8
	s_addc_u32 s15, s19, 0
	s_add_u32 s22, s16, 8
	s_addc_u32 s23, s17, 0
	v_dual_mov_b32 v165, v5 :: v_dual_mov_b32 v164, v4
	s_mov_b64 s[26:27], 1
	s_waitcnt lgkmcnt(0)
	s_add_u32 s24, s2, 8
	s_addc_u32 s25, s3, 0
.LBB0_2:                                ; =>This Inner Loop Header: Depth=1
	s_load_b64 s[28:29], s[24:25], 0x0
                                        ; implicit-def: $vgpr166_vgpr167
	s_mov_b32 s2, exec_lo
	s_waitcnt lgkmcnt(0)
	v_or_b32_e32 v2, s29, v7
	s_delay_alu instid0(VALU_DEP_1)
	v_cmpx_ne_u64_e32 0, v[1:2]
	s_xor_b32 s3, exec_lo, s2
	s_cbranch_execz .LBB0_4
; %bb.3:                                ;   in Loop: Header=BB0_2 Depth=1
	v_cvt_f32_u32_e32 v2, s28
	v_cvt_f32_u32_e32 v3, s29
	s_sub_u32 s2, 0, s28
	s_subb_u32 s30, 0, s29
	s_delay_alu instid0(VALU_DEP_1) | instskip(NEXT) | instid1(VALU_DEP_1)
	v_fmac_f32_e32 v2, 0x4f800000, v3
	v_rcp_f32_e32 v2, v2
	s_waitcnt_depctr 0xfff
	v_mul_f32_e32 v2, 0x5f7ffffc, v2
	s_delay_alu instid0(VALU_DEP_1) | instskip(NEXT) | instid1(VALU_DEP_1)
	v_mul_f32_e32 v3, 0x2f800000, v2
	v_trunc_f32_e32 v3, v3
	s_delay_alu instid0(VALU_DEP_1) | instskip(SKIP_1) | instid1(VALU_DEP_2)
	v_fmac_f32_e32 v2, 0xcf800000, v3
	v_cvt_u32_f32_e32 v3, v3
	v_cvt_u32_f32_e32 v2, v2
	s_delay_alu instid0(VALU_DEP_2) | instskip(NEXT) | instid1(VALU_DEP_2)
	v_mul_lo_u32 v8, s2, v3
	v_mul_hi_u32 v9, s2, v2
	v_mul_lo_u32 v10, s30, v2
	s_delay_alu instid0(VALU_DEP_2) | instskip(SKIP_1) | instid1(VALU_DEP_2)
	v_add_nc_u32_e32 v8, v9, v8
	v_mul_lo_u32 v9, s2, v2
	v_add_nc_u32_e32 v8, v8, v10
	s_delay_alu instid0(VALU_DEP_2) | instskip(NEXT) | instid1(VALU_DEP_2)
	v_mul_hi_u32 v10, v2, v9
	v_mul_lo_u32 v11, v2, v8
	v_mul_hi_u32 v12, v2, v8
	v_mul_hi_u32 v13, v3, v9
	v_mul_lo_u32 v9, v3, v9
	v_mul_hi_u32 v14, v3, v8
	v_mul_lo_u32 v8, v3, v8
	v_add_co_u32 v10, vcc_lo, v10, v11
	v_add_co_ci_u32_e32 v11, vcc_lo, 0, v12, vcc_lo
	s_delay_alu instid0(VALU_DEP_2) | instskip(NEXT) | instid1(VALU_DEP_2)
	v_add_co_u32 v9, vcc_lo, v10, v9
	v_add_co_ci_u32_e32 v9, vcc_lo, v11, v13, vcc_lo
	v_add_co_ci_u32_e32 v10, vcc_lo, 0, v14, vcc_lo
	s_delay_alu instid0(VALU_DEP_2) | instskip(NEXT) | instid1(VALU_DEP_2)
	v_add_co_u32 v8, vcc_lo, v9, v8
	v_add_co_ci_u32_e32 v9, vcc_lo, 0, v10, vcc_lo
	s_delay_alu instid0(VALU_DEP_2) | instskip(NEXT) | instid1(VALU_DEP_2)
	v_add_co_u32 v2, vcc_lo, v2, v8
	v_add_co_ci_u32_e32 v3, vcc_lo, v3, v9, vcc_lo
	s_delay_alu instid0(VALU_DEP_2) | instskip(SKIP_1) | instid1(VALU_DEP_3)
	v_mul_hi_u32 v8, s2, v2
	v_mul_lo_u32 v10, s30, v2
	v_mul_lo_u32 v9, s2, v3
	s_delay_alu instid0(VALU_DEP_1) | instskip(SKIP_1) | instid1(VALU_DEP_2)
	v_add_nc_u32_e32 v8, v8, v9
	v_mul_lo_u32 v9, s2, v2
	v_add_nc_u32_e32 v8, v8, v10
	s_delay_alu instid0(VALU_DEP_2) | instskip(NEXT) | instid1(VALU_DEP_2)
	v_mul_hi_u32 v10, v2, v9
	v_mul_lo_u32 v11, v2, v8
	v_mul_hi_u32 v12, v2, v8
	v_mul_hi_u32 v13, v3, v9
	v_mul_lo_u32 v9, v3, v9
	v_mul_hi_u32 v14, v3, v8
	v_mul_lo_u32 v8, v3, v8
	v_add_co_u32 v10, vcc_lo, v10, v11
	v_add_co_ci_u32_e32 v11, vcc_lo, 0, v12, vcc_lo
	s_delay_alu instid0(VALU_DEP_2) | instskip(NEXT) | instid1(VALU_DEP_2)
	v_add_co_u32 v9, vcc_lo, v10, v9
	v_add_co_ci_u32_e32 v9, vcc_lo, v11, v13, vcc_lo
	v_add_co_ci_u32_e32 v10, vcc_lo, 0, v14, vcc_lo
	s_delay_alu instid0(VALU_DEP_2) | instskip(NEXT) | instid1(VALU_DEP_2)
	v_add_co_u32 v8, vcc_lo, v9, v8
	v_add_co_ci_u32_e32 v9, vcc_lo, 0, v10, vcc_lo
	s_delay_alu instid0(VALU_DEP_2) | instskip(NEXT) | instid1(VALU_DEP_2)
	v_add_co_u32 v10, vcc_lo, v2, v8
	v_add_co_ci_u32_e32 v12, vcc_lo, v3, v9, vcc_lo
	s_delay_alu instid0(VALU_DEP_2) | instskip(SKIP_1) | instid1(VALU_DEP_3)
	v_mul_hi_u32 v13, v6, v10
	v_mad_u64_u32 v[8:9], null, v7, v10, 0
	v_mad_u64_u32 v[2:3], null, v6, v12, 0
	;; [unrolled: 1-line block ×3, first 2 shown]
	s_delay_alu instid0(VALU_DEP_2) | instskip(NEXT) | instid1(VALU_DEP_3)
	v_add_co_u32 v2, vcc_lo, v13, v2
	v_add_co_ci_u32_e32 v3, vcc_lo, 0, v3, vcc_lo
	s_delay_alu instid0(VALU_DEP_2) | instskip(NEXT) | instid1(VALU_DEP_2)
	v_add_co_u32 v2, vcc_lo, v2, v8
	v_add_co_ci_u32_e32 v2, vcc_lo, v3, v9, vcc_lo
	v_add_co_ci_u32_e32 v3, vcc_lo, 0, v11, vcc_lo
	s_delay_alu instid0(VALU_DEP_2) | instskip(NEXT) | instid1(VALU_DEP_2)
	v_add_co_u32 v8, vcc_lo, v2, v10
	v_add_co_ci_u32_e32 v9, vcc_lo, 0, v3, vcc_lo
	s_delay_alu instid0(VALU_DEP_2) | instskip(SKIP_1) | instid1(VALU_DEP_3)
	v_mul_lo_u32 v10, s29, v8
	v_mad_u64_u32 v[2:3], null, s28, v8, 0
	v_mul_lo_u32 v11, s28, v9
	s_delay_alu instid0(VALU_DEP_2) | instskip(NEXT) | instid1(VALU_DEP_2)
	v_sub_co_u32 v2, vcc_lo, v6, v2
	v_add3_u32 v3, v3, v11, v10
	s_delay_alu instid0(VALU_DEP_1) | instskip(NEXT) | instid1(VALU_DEP_1)
	v_sub_nc_u32_e32 v10, v7, v3
	v_subrev_co_ci_u32_e64 v10, s2, s29, v10, vcc_lo
	v_add_co_u32 v11, s2, v8, 2
	s_delay_alu instid0(VALU_DEP_1) | instskip(SKIP_3) | instid1(VALU_DEP_3)
	v_add_co_ci_u32_e64 v12, s2, 0, v9, s2
	v_sub_co_u32 v13, s2, v2, s28
	v_sub_co_ci_u32_e32 v3, vcc_lo, v7, v3, vcc_lo
	v_subrev_co_ci_u32_e64 v10, s2, 0, v10, s2
	v_cmp_le_u32_e32 vcc_lo, s28, v13
	s_delay_alu instid0(VALU_DEP_3) | instskip(SKIP_1) | instid1(VALU_DEP_4)
	v_cmp_eq_u32_e64 s2, s29, v3
	v_cndmask_b32_e64 v13, 0, -1, vcc_lo
	v_cmp_le_u32_e32 vcc_lo, s29, v10
	v_cndmask_b32_e64 v14, 0, -1, vcc_lo
	v_cmp_le_u32_e32 vcc_lo, s28, v2
	;; [unrolled: 2-line block ×3, first 2 shown]
	v_cndmask_b32_e64 v15, 0, -1, vcc_lo
	v_cmp_eq_u32_e32 vcc_lo, s29, v10
	s_delay_alu instid0(VALU_DEP_2) | instskip(SKIP_3) | instid1(VALU_DEP_3)
	v_cndmask_b32_e64 v2, v15, v2, s2
	v_cndmask_b32_e32 v10, v14, v13, vcc_lo
	v_add_co_u32 v13, vcc_lo, v8, 1
	v_add_co_ci_u32_e32 v14, vcc_lo, 0, v9, vcc_lo
	v_cmp_ne_u32_e32 vcc_lo, 0, v10
	s_delay_alu instid0(VALU_DEP_2) | instskip(SKIP_1) | instid1(VALU_DEP_2)
	v_dual_cndmask_b32 v3, v14, v12 :: v_dual_cndmask_b32 v10, v13, v11
	v_cmp_ne_u32_e32 vcc_lo, 0, v2
	v_dual_cndmask_b32 v167, v9, v3 :: v_dual_cndmask_b32 v166, v8, v10
.LBB0_4:                                ;   in Loop: Header=BB0_2 Depth=1
	s_and_not1_saveexec_b32 s2, s3
	s_cbranch_execz .LBB0_6
; %bb.5:                                ;   in Loop: Header=BB0_2 Depth=1
	v_cvt_f32_u32_e32 v2, s28
	s_sub_i32 s3, 0, s28
	v_mov_b32_e32 v167, v1
	s_delay_alu instid0(VALU_DEP_2) | instskip(SKIP_2) | instid1(VALU_DEP_1)
	v_rcp_iflag_f32_e32 v2, v2
	s_waitcnt_depctr 0xfff
	v_mul_f32_e32 v2, 0x4f7ffffe, v2
	v_cvt_u32_f32_e32 v2, v2
	s_delay_alu instid0(VALU_DEP_1) | instskip(NEXT) | instid1(VALU_DEP_1)
	v_mul_lo_u32 v3, s3, v2
	v_mul_hi_u32 v3, v2, v3
	s_delay_alu instid0(VALU_DEP_1) | instskip(NEXT) | instid1(VALU_DEP_1)
	v_add_nc_u32_e32 v2, v2, v3
	v_mul_hi_u32 v2, v6, v2
	s_delay_alu instid0(VALU_DEP_1) | instskip(SKIP_1) | instid1(VALU_DEP_2)
	v_mul_lo_u32 v3, v2, s28
	v_add_nc_u32_e32 v8, 1, v2
	v_sub_nc_u32_e32 v3, v6, v3
	s_delay_alu instid0(VALU_DEP_1) | instskip(SKIP_1) | instid1(VALU_DEP_2)
	v_subrev_nc_u32_e32 v9, s28, v3
	v_cmp_le_u32_e32 vcc_lo, s28, v3
	v_dual_cndmask_b32 v3, v3, v9 :: v_dual_cndmask_b32 v2, v2, v8
	s_delay_alu instid0(VALU_DEP_1) | instskip(NEXT) | instid1(VALU_DEP_2)
	v_cmp_le_u32_e32 vcc_lo, s28, v3
	v_add_nc_u32_e32 v8, 1, v2
	s_delay_alu instid0(VALU_DEP_1)
	v_cndmask_b32_e32 v166, v2, v8, vcc_lo
.LBB0_6:                                ;   in Loop: Header=BB0_2 Depth=1
	s_or_b32 exec_lo, exec_lo, s2
	s_delay_alu instid0(VALU_DEP_1) | instskip(NEXT) | instid1(VALU_DEP_2)
	v_mul_lo_u32 v8, v167, s28
	v_mul_lo_u32 v9, v166, s29
	s_load_b64 s[2:3], s[22:23], 0x0
	v_mad_u64_u32 v[2:3], null, v166, s28, 0
	s_load_b64 s[28:29], s[14:15], 0x0
	s_add_u32 s26, s26, 1
	s_addc_u32 s27, s27, 0
	s_add_u32 s14, s14, 8
	s_addc_u32 s15, s15, 0
	s_add_u32 s22, s22, 8
	s_delay_alu instid0(VALU_DEP_1) | instskip(SKIP_3) | instid1(VALU_DEP_2)
	v_add3_u32 v3, v3, v9, v8
	v_sub_co_u32 v8, vcc_lo, v6, v2
	s_addc_u32 s23, s23, 0
	s_add_u32 s24, s24, 8
	v_sub_co_ci_u32_e32 v6, vcc_lo, v7, v3, vcc_lo
	s_addc_u32 s25, s25, 0
	s_waitcnt lgkmcnt(0)
	s_delay_alu instid0(VALU_DEP_1)
	v_mul_lo_u32 v9, s2, v6
	v_mul_lo_u32 v10, s3, v8
	v_mad_u64_u32 v[2:3], null, s2, v8, v[4:5]
	v_mul_lo_u32 v11, s28, v6
	v_mul_lo_u32 v12, s29, v8
	v_mad_u64_u32 v[6:7], null, s28, v8, v[164:165]
	v_cmp_ge_u64_e64 s2, s[26:27], s[6:7]
	v_add3_u32 v5, v10, v3, v9
	v_mov_b32_e32 v4, v2
	s_delay_alu instid0(VALU_DEP_4)
	v_add3_u32 v165, v12, v7, v11
	v_mov_b32_e32 v164, v6
	s_and_b32 vcc_lo, exec_lo, s2
	s_cbranch_vccnz .LBB0_9
; %bb.7:                                ;   in Loop: Header=BB0_2 Depth=1
	v_dual_mov_b32 v6, v166 :: v_dual_mov_b32 v7, v167
	s_branch .LBB0_2
.LBB0_8:
	v_dual_mov_b32 v165, v5 :: v_dual_mov_b32 v164, v4
	s_delay_alu instid0(VALU_DEP_2)
	v_dual_mov_b32 v167, v7 :: v_dual_mov_b32 v166, v6
.LBB0_9:
	s_load_b64 s[0:1], s[0:1], 0x28
	v_mul_hi_u32 v1, 0x4104105, v0
	s_lshl_b64 s[6:7], s[6:7], 3
                                        ; implicit-def: $vgpr202
                                        ; implicit-def: $vgpr138
                                        ; implicit-def: $vgpr139
                                        ; implicit-def: $vgpr203
                                        ; implicit-def: $vgpr131
                                        ; implicit-def: $vgpr132
                                        ; implicit-def: $vgpr133
                                        ; implicit-def: $vgpr134
                                        ; implicit-def: $vgpr130
	s_delay_alu instid0(SALU_CYCLE_1) | instskip(SKIP_4) | instid1(VALU_DEP_1)
	s_add_u32 s2, s18, s6
	s_addc_u32 s3, s19, s7
	s_waitcnt lgkmcnt(0)
	v_cmp_gt_u64_e32 vcc_lo, s[0:1], v[166:167]
	v_cmp_le_u64_e64 s0, s[0:1], v[166:167]
	s_and_saveexec_b32 s1, s0
	s_delay_alu instid0(SALU_CYCLE_1)
	s_xor_b32 s0, exec_lo, s1
; %bb.10:
	v_mul_u32_u24_e32 v1, 63, v1
                                        ; implicit-def: $vgpr4_vgpr5
	s_delay_alu instid0(VALU_DEP_1) | instskip(NEXT) | instid1(VALU_DEP_1)
	v_sub_nc_u32_e32 v202, v0, v1
                                        ; implicit-def: $vgpr1
                                        ; implicit-def: $vgpr0
	v_add_nc_u32_e32 v138, 63, v202
	v_add_nc_u32_e32 v139, 0x7e, v202
	;; [unrolled: 1-line block ×8, first 2 shown]
; %bb.11:
	s_or_saveexec_b32 s1, s0
                                        ; implicit-def: $vgpr30_vgpr31
                                        ; implicit-def: $vgpr26_vgpr27
                                        ; implicit-def: $vgpr34_vgpr35
                                        ; implicit-def: $vgpr42_vgpr43
                                        ; implicit-def: $vgpr38_vgpr39
                                        ; implicit-def: $vgpr46_vgpr47
                                        ; implicit-def: $vgpr54_vgpr55
                                        ; implicit-def: $vgpr50_vgpr51
                                        ; implicit-def: $vgpr58_vgpr59
                                        ; implicit-def: $vgpr66_vgpr67
                                        ; implicit-def: $vgpr62_vgpr63
                                        ; implicit-def: $vgpr70_vgpr71
                                        ; implicit-def: $vgpr78_vgpr79
                                        ; implicit-def: $vgpr82_vgpr83
                                        ; implicit-def: $vgpr74_vgpr75
                                        ; implicit-def: $vgpr102_vgpr103
                                        ; implicit-def: $vgpr98_vgpr99
                                        ; implicit-def: $vgpr86_vgpr87
                                        ; implicit-def: $vgpr94_vgpr95
                                        ; implicit-def: $vgpr106_vgpr107
                                        ; implicit-def: $vgpr90_vgpr91
                                        ; implicit-def: $vgpr14_vgpr15
                                        ; implicit-def: $vgpr22_vgpr23
                                        ; implicit-def: $vgpr10_vgpr11
                                        ; implicit-def: $vgpr18_vgpr19
                                        ; implicit-def: $vgpr6_vgpr7
                                        ; implicit-def: $vgpr2_vgpr3
	s_delay_alu instid0(SALU_CYCLE_1)
	s_xor_b32 exec_lo, exec_lo, s1
	s_cbranch_execz .LBB0_13
; %bb.12:
	s_add_u32 s6, s16, s6
	s_addc_u32 s7, s17, s7
	v_mul_u32_u24_e32 v1, 63, v1
	s_load_b64 s[6:7], s[6:7], 0x0
	v_lshlrev_b64 v[4:5], 4, v[4:5]
	s_delay_alu instid0(VALU_DEP_2) | instskip(NEXT) | instid1(VALU_DEP_1)
	v_sub_nc_u32_e32 v202, v0, v1
	v_add_nc_u32_e32 v14, 0x237, v202
	v_mad_u64_u32 v[0:1], null, s20, v202, 0
	v_add_nc_u32_e32 v139, 0x7e, v202
	v_add_nc_u32_e32 v19, 0x4ad, v202
	s_delay_alu instid0(VALU_DEP_4) | instskip(SKIP_1) | instid1(VALU_DEP_4)
	v_mad_u64_u32 v[2:3], null, s20, v14, 0
	v_add_nc_u32_e32 v203, 0xbd, v202
	v_mad_u64_u32 v[26:27], null, s20, v139, 0
	v_add_nc_u32_e32 v15, 0x46e, v202
	s_waitcnt lgkmcnt(0)
	v_mul_lo_u32 v16, s7, v166
	v_mul_lo_u32 v17, s6, v167
	v_mad_u64_u32 v[6:7], null, s6, v166, 0
	v_mad_u64_u32 v[12:13], null, s21, v202, v[1:2]
	;; [unrolled: 1-line block ×3, first 2 shown]
	v_add_nc_u32_e32 v131, 0xfc, v202
	v_add_nc_u32_e32 v55, 0x5a9, v202
	v_add3_u32 v7, v7, v17, v16
	v_add_nc_u32_e32 v133, 0x17a, v202
	v_mov_b32_e32 v1, v12
	v_mad_u64_u32 v[12:13], null, s21, v14, v[3:4]
	v_add_nc_u32_e32 v138, 63, v202
	v_lshlrev_b64 v[6:7], 4, v[6:7]
	s_delay_alu instid0(VALU_DEP_4)
	v_lshlrev_b64 v[0:1], 4, v[0:1]
	v_add_nc_u32_e32 v59, 0x3b1, v202
	v_add_nc_u32_e32 v36, 0x4ec, v202
	v_dual_mov_b32 v3, v12 :: v_dual_add_nc_u32 v40, 0x2f4, v202
	v_mad_u64_u32 v[10:11], null, s20, v138, 0
	v_add_co_u32 v6, s0, s8, v6
	s_delay_alu instid0(VALU_DEP_1) | instskip(NEXT) | instid1(VALU_DEP_4)
	v_add_co_ci_u32_e64 v7, s0, s9, v7, s0
	v_lshlrev_b64 v[2:3], 4, v[2:3]
	s_delay_alu instid0(VALU_DEP_3) | instskip(SKIP_1) | instid1(VALU_DEP_4)
	v_add_co_u32 v24, s0, v6, v4
	v_mad_u64_u32 v[13:14], null, s21, v15, v[9:10]
	v_add_co_ci_u32_e64 v25, s0, v7, v5, s0
	s_delay_alu instid0(VALU_DEP_3) | instskip(SKIP_1) | instid1(VALU_DEP_3)
	v_add_co_u32 v0, s0, v24, v0
	v_add_nc_u32_e32 v18, 0x276, v202
	v_add_co_ci_u32_e64 v1, s0, v25, v1, s0
	v_mov_b32_e32 v9, v13
	v_add_co_u32 v4, s0, v24, v2
	s_delay_alu instid0(VALU_DEP_1) | instskip(SKIP_4) | instid1(VALU_DEP_4)
	v_add_co_ci_u32_e64 v5, s0, v25, v3, s0
	v_mad_u64_u32 v[2:3], null, s21, v138, v[11:12]
	v_mad_u64_u32 v[12:13], null, s20, v18, 0
	;; [unrolled: 1-line block ×4, first 2 shown]
	v_mov_b32_e32 v11, v2
	v_lshlrev_b64 v[8:9], 4, v[8:9]
	s_clause 0x1
	global_load_b128 v[0:3], v[0:1], off
	global_load_b128 v[4:7], v[4:5], off
	v_add_nc_u32_e32 v42, 0x52b, v202
	v_mad_u64_u32 v[16:17], null, s21, v18, v[13:14]
	v_lshlrev_b64 v[10:11], 4, v[10:11]
	v_add_co_u32 v8, s0, v24, v8
	s_delay_alu instid0(VALU_DEP_1)
	v_add_co_ci_u32_e64 v9, s0, v25, v9, s0
	v_add_nc_u32_e32 v46, 0x333, v202
	v_mad_u64_u32 v[17:18], null, s21, v19, v[15:16]
	v_add_nc_u32_e32 v19, 0x2b5, v202
	v_dual_mov_b32 v13, v16 :: v_dual_mov_b32 v16, v27
	v_add_co_u32 v10, s0, v24, v10
	s_delay_alu instid0(VALU_DEP_3) | instskip(SKIP_1) | instid1(VALU_DEP_4)
	v_mad_u64_u32 v[28:29], null, s20, v19, 0
	v_mov_b32_e32 v15, v17
	v_mad_u64_u32 v[17:18], null, s21, v139, v[16:17]
	v_add_nc_u32_e32 v48, 0x56a, v202
	v_lshlrev_b64 v[12:13], 4, v[12:13]
	s_delay_alu instid0(VALU_DEP_4) | instskip(SKIP_4) | instid1(VALU_DEP_4)
	v_lshlrev_b64 v[14:15], 4, v[14:15]
	v_mov_b32_e32 v16, v29
	v_add_co_ci_u32_e64 v11, s0, v25, v11, s0
	v_mov_b32_e32 v27, v17
	v_add_co_u32 v12, s0, v24, v12
	v_mad_u64_u32 v[32:33], null, s21, v19, v[16:17]
	s_delay_alu instid0(VALU_DEP_3) | instskip(SKIP_2) | instid1(VALU_DEP_4)
	v_lshlrev_b64 v[26:27], 4, v[26:27]
	v_add_co_ci_u32_e64 v13, s0, v25, v13, s0
	v_add_co_u32 v14, s0, v24, v14
	v_dual_mov_b32 v29, v32 :: v_dual_add_nc_u32 v132, 0x13b, v202
	v_mad_u64_u32 v[32:33], null, s20, v203, 0
	v_add_co_ci_u32_e64 v15, s0, v25, v15, s0
	s_delay_alu instid0(VALU_DEP_3) | instskip(SKIP_1) | instid1(VALU_DEP_1)
	v_lshlrev_b64 v[28:29], 4, v[28:29]
	v_add_co_u32 v26, s0, v24, v26
	v_add_co_ci_u32_e64 v27, s0, v25, v27, s0
	v_mad_u64_u32 v[34:35], null, s21, v36, v[31:32]
	s_delay_alu instid0(VALU_DEP_4)
	v_add_co_u32 v28, s0, v24, v28
	v_add_nc_u32_e32 v52, 0x372, v202
	v_add_co_ci_u32_e64 v29, s0, v25, v29, s0
	s_clause 0x3
	global_load_b128 v[16:19], v[8:9], off
	global_load_b128 v[8:11], v[10:11], off
	;; [unrolled: 1-line block ×4, first 2 shown]
	v_mov_b32_e32 v31, v34
	v_mad_u64_u32 v[34:35], null, s20, v40, 0
	s_clause 0x1
	global_load_b128 v[88:91], v[26:27], off
	global_load_b128 v[104:107], v[28:29], off
	v_add_nc_u32_e32 v60, 0x5e8, v202
	v_lshlrev_b64 v[30:31], 4, v[30:31]
	v_add_nc_u32_e32 v134, 0x1b9, v202
	v_add_nc_u32_e32 v64, 0x3f0, v202
	;; [unrolled: 1-line block ×3, first 2 shown]
	v_mad_u64_u32 v[36:37], null, s21, v203, v[33:34]
	v_add_co_u32 v30, s0, v24, v30
	s_delay_alu instid0(VALU_DEP_1) | instskip(NEXT) | instid1(VALU_DEP_3)
	v_add_co_ci_u32_e64 v31, s0, v25, v31, s0
	v_dual_mov_b32 v33, v36 :: v_dual_add_nc_u32 v66, 0x42f, v202
	v_mad_u64_u32 v[36:37], null, s20, v42, 0
	s_delay_alu instid0(VALU_DEP_2) | instskip(NEXT) | instid1(VALU_DEP_2)
	v_lshlrev_b64 v[32:33], 4, v[32:33]
	v_mad_u64_u32 v[38:39], null, s21, v40, v[35:36]
	s_delay_alu instid0(VALU_DEP_2) | instskip(NEXT) | instid1(VALU_DEP_1)
	v_add_co_u32 v32, s0, v24, v32
	v_add_co_ci_u32_e64 v33, s0, v25, v33, s0
	s_clause 0x1
	global_load_b128 v[92:95], v[30:31], off
	global_load_b128 v[84:87], v[32:33], off
	v_mov_b32_e32 v35, v38
	v_mad_u64_u32 v[38:39], null, s20, v131, 0
	s_delay_alu instid0(VALU_DEP_2) | instskip(NEXT) | instid1(VALU_DEP_2)
	v_lshlrev_b64 v[34:35], 4, v[34:35]
	v_mad_u64_u32 v[40:41], null, s21, v42, v[37:38]
	s_delay_alu instid0(VALU_DEP_2) | instskip(NEXT) | instid1(VALU_DEP_1)
	v_add_co_u32 v34, s0, v24, v34
	v_add_co_ci_u32_e64 v35, s0, v25, v35, s0
	s_delay_alu instid0(VALU_DEP_3) | instskip(SKIP_1) | instid1(VALU_DEP_2)
	v_mov_b32_e32 v37, v40
	v_mad_u64_u32 v[40:41], null, s20, v46, 0
	v_lshlrev_b64 v[36:37], 4, v[36:37]
	s_delay_alu instid0(VALU_DEP_2) | instskip(NEXT) | instid1(VALU_DEP_2)
	v_mad_u64_u32 v[42:43], null, s21, v131, v[39:40]
	v_add_co_u32 v36, s0, v24, v36
	s_delay_alu instid0(VALU_DEP_1)
	v_add_co_ci_u32_e64 v37, s0, v25, v37, s0
	s_clause 0x1
	global_load_b128 v[96:99], v[34:35], off
	global_load_b128 v[100:103], v[36:37], off
	v_mov_b32_e32 v39, v42
	v_mad_u64_u32 v[42:43], null, s20, v48, 0
	s_delay_alu instid0(VALU_DEP_2) | instskip(NEXT) | instid1(VALU_DEP_2)
	v_lshlrev_b64 v[38:39], 4, v[38:39]
	v_mad_u64_u32 v[44:45], null, s21, v46, v[41:42]
	s_delay_alu instid0(VALU_DEP_2) | instskip(NEXT) | instid1(VALU_DEP_1)
	v_add_co_u32 v38, s0, v24, v38
	v_add_co_ci_u32_e64 v39, s0, v25, v39, s0
	s_delay_alu instid0(VALU_DEP_3) | instskip(SKIP_1) | instid1(VALU_DEP_1)
	v_mov_b32_e32 v41, v44
	v_mad_u64_u32 v[44:45], null, s20, v132, 0
	v_mad_u64_u32 v[46:47], null, s21, v48, v[43:44]
	s_delay_alu instid0(VALU_DEP_1) | instskip(SKIP_1) | instid1(VALU_DEP_2)
	v_mov_b32_e32 v43, v46
	v_mad_u64_u32 v[46:47], null, s20, v52, 0
	v_lshlrev_b64 v[42:43], 4, v[42:43]
	s_delay_alu instid0(VALU_DEP_2) | instskip(NEXT) | instid1(VALU_DEP_1)
	v_mad_u64_u32 v[48:49], null, s21, v132, v[45:46]
	v_mov_b32_e32 v45, v48
	v_mad_u64_u32 v[48:49], null, s20, v55, 0
	s_delay_alu instid0(VALU_DEP_2) | instskip(NEXT) | instid1(VALU_DEP_2)
	v_lshlrev_b64 v[44:45], 4, v[44:45]
	v_mad_u64_u32 v[50:51], null, s21, v52, v[47:48]
	v_mad_u64_u32 v[51:52], null, s20, v133, 0
	s_delay_alu instid0(VALU_DEP_2) | instskip(NEXT) | instid1(VALU_DEP_2)
	v_mad_u64_u32 v[53:54], null, s21, v55, v[49:50]
	v_dual_mov_b32 v47, v50 :: v_dual_mov_b32 v50, v52
	v_mad_u64_u32 v[55:56], null, s20, v60, 0
	s_delay_alu instid0(VALU_DEP_2) | instskip(NEXT) | instid1(VALU_DEP_4)
	v_lshlrev_b64 v[46:47], 4, v[46:47]
	v_mov_b32_e32 v49, v53
	s_delay_alu instid0(VALU_DEP_4) | instskip(SKIP_1) | instid1(VALU_DEP_3)
	v_mad_u64_u32 v[52:53], null, s21, v133, v[50:51]
	v_mad_u64_u32 v[53:54], null, s20, v59, 0
	v_lshlrev_b64 v[48:49], 4, v[48:49]
	s_delay_alu instid0(VALU_DEP_2) | instskip(NEXT) | instid1(VALU_DEP_1)
	v_mov_b32_e32 v50, v54
	v_mad_u64_u32 v[57:58], null, s21, v59, v[50:51]
	v_mad_u64_u32 v[58:59], null, s20, v134, 0
	v_lshlrev_b64 v[51:52], 4, v[51:52]
	v_mov_b32_e32 v50, v56
	s_delay_alu instid0(VALU_DEP_4) | instskip(NEXT) | instid1(VALU_DEP_2)
	v_mov_b32_e32 v54, v57
	v_mad_u64_u32 v[56:57], null, s21, v60, v[50:51]
	v_mov_b32_e32 v50, v59
	v_lshlrev_b64 v[40:41], 4, v[40:41]
	v_mad_u64_u32 v[60:61], null, s20, v64, 0
	v_lshlrev_b64 v[53:54], 4, v[53:54]
	v_lshlrev_b64 v[55:56], 4, v[55:56]
	s_delay_alu instid0(VALU_DEP_4) | instskip(NEXT) | instid1(VALU_DEP_1)
	v_add_co_u32 v40, s0, v24, v40
	v_add_co_ci_u32_e64 v41, s0, v25, v41, s0
	v_add_co_u32 v42, s0, v24, v42
	s_delay_alu instid0(VALU_DEP_1) | instskip(SKIP_1) | instid1(VALU_DEP_1)
	v_add_co_ci_u32_e64 v43, s0, v25, v43, s0
	v_add_co_u32 v44, s0, v24, v44
	v_add_co_ci_u32_e64 v45, s0, v25, v45, s0
	v_add_co_u32 v46, s0, v24, v46
	s_delay_alu instid0(VALU_DEP_1) | instskip(SKIP_1) | instid1(VALU_DEP_1)
	v_add_co_ci_u32_e64 v47, s0, v25, v47, s0
	v_add_co_u32 v48, s0, v24, v48
	v_add_co_ci_u32_e64 v49, s0, v25, v49, s0
	v_add_co_u32 v51, s0, v24, v51
	s_delay_alu instid0(VALU_DEP_1) | instskip(SKIP_1) | instid1(VALU_DEP_3)
	v_add_co_ci_u32_e64 v52, s0, v25, v52, s0
	v_add_co_u32 v53, s0, v24, v53
	v_mad_u64_u32 v[62:63], null, s21, v134, v[50:51]
	v_mov_b32_e32 v50, v61
	v_add_co_ci_u32_e64 v54, s0, v25, v54, s0
	v_add_co_u32 v108, s0, v24, v55
	s_delay_alu instid0(VALU_DEP_1) | instskip(SKIP_4) | instid1(VALU_DEP_4)
	v_add_co_ci_u32_e64 v109, s0, v25, v56, s0
	v_mov_b32_e32 v59, v62
	v_mad_u64_u32 v[61:62], null, s21, v64, v[50:51]
	v_add_nc_u32_e32 v64, 0x627, v202
	v_mad_u64_u32 v[62:63], null, s20, v130, 0
	v_lshlrev_b64 v[55:56], 4, v[58:59]
	s_delay_alu instid0(VALU_DEP_3) | instskip(NEXT) | instid1(VALU_DEP_2)
	v_mad_u64_u32 v[57:58], null, s20, v64, 0
	v_add_co_u32 v110, s0, v24, v55
	s_delay_alu instid0(VALU_DEP_1) | instskip(NEXT) | instid1(VALU_DEP_3)
	v_add_co_ci_u32_e64 v111, s0, v25, v56, s0
	v_mov_b32_e32 v50, v58
	v_lshlrev_b64 v[55:56], 4, v[60:61]
	v_mov_b32_e32 v58, v63
	s_delay_alu instid0(VALU_DEP_3) | instskip(SKIP_1) | instid1(VALU_DEP_4)
	v_mad_u64_u32 v[59:60], null, s21, v64, v[50:51]
	v_mad_u64_u32 v[64:65], null, s20, v66, 0
	v_add_co_u32 v112, s0, v24, v55
	s_delay_alu instid0(VALU_DEP_1) | instskip(NEXT) | instid1(VALU_DEP_4)
	v_add_co_ci_u32_e64 v113, s0, v25, v56, s0
	v_mad_u64_u32 v[60:61], null, s21, v130, v[58:59]
	v_dual_mov_b32 v58, v59 :: v_dual_add_nc_u32 v61, 0x666, v202
	v_mov_b32_e32 v50, v65
	s_delay_alu instid0(VALU_DEP_2) | instskip(NEXT) | instid1(VALU_DEP_2)
	v_mad_u64_u32 v[55:56], null, s20, v61, 0
	v_mad_u64_u32 v[26:27], null, s21, v66, v[50:51]
	s_delay_alu instid0(VALU_DEP_4) | instskip(NEXT) | instid1(VALU_DEP_3)
	v_lshlrev_b64 v[28:29], 4, v[57:58]
	v_mov_b32_e32 v27, v56
	s_delay_alu instid0(VALU_DEP_3) | instskip(NEXT) | instid1(VALU_DEP_3)
	v_mov_b32_e32 v65, v26
	v_add_co_u32 v26, s0, v24, v28
	s_delay_alu instid0(VALU_DEP_3) | instskip(SKIP_3) | instid1(VALU_DEP_4)
	v_mad_u64_u32 v[30:31], null, s21, v61, v[27:28]
	v_mov_b32_e32 v63, v60
	v_add_co_ci_u32_e64 v27, s0, v25, v29, s0
	v_lshlrev_b64 v[28:29], 4, v[64:65]
	v_mov_b32_e32 v56, v30
	s_delay_alu instid0(VALU_DEP_4) | instskip(NEXT) | instid1(VALU_DEP_1)
	v_lshlrev_b64 v[31:32], 4, v[62:63]
	v_add_co_u32 v30, s0, v24, v31
	s_delay_alu instid0(VALU_DEP_1) | instskip(NEXT) | instid1(VALU_DEP_4)
	v_add_co_ci_u32_e64 v31, s0, v25, v32, s0
	v_lshlrev_b64 v[32:33], 4, v[55:56]
	v_add_co_u32 v28, s0, v24, v28
	s_delay_alu instid0(VALU_DEP_1) | instskip(NEXT) | instid1(VALU_DEP_3)
	v_add_co_ci_u32_e64 v29, s0, v25, v29, s0
	v_add_co_u32 v114, s0, v24, v32
	s_delay_alu instid0(VALU_DEP_1)
	v_add_co_ci_u32_e64 v115, s0, v25, v33, s0
	s_clause 0xe
	global_load_b128 v[72:75], v[38:39], off
	global_load_b128 v[80:83], v[40:41], off
	;; [unrolled: 1-line block ×15, first 2 shown]
.LBB0_13:
	s_or_b32 exec_lo, exec_lo, s1
	s_waitcnt vmcnt(24)
	v_add_f64 v[112:113], v[16:17], v[4:5]
	v_add_f64 v[108:109], v[4:5], v[0:1]
	;; [unrolled: 1-line block ×3, first 2 shown]
	s_waitcnt vmcnt(21)
	v_add_f64 v[120:121], v[12:13], v[20:21]
	s_waitcnt vmcnt(18)
	v_add_f64 v[128:129], v[92:93], v[104:105]
	v_add_f64 v[135:136], v[94:95], v[106:107]
	s_waitcnt vmcnt(15)
	v_add_f64 v[144:145], v[100:101], v[96:97]
	s_waitcnt vmcnt(12)
	;; [unrolled: 2-line block ×3, first 2 shown]
	v_add_f64 v[150:151], v[64:65], v[60:61]
	v_add_f64 v[114:115], v[18:19], v[6:7]
	;; [unrolled: 1-line block ×8, first 2 shown]
	s_waitcnt vmcnt(6)
	v_add_f64 v[152:153], v[52:53], v[48:49]
	v_add_f64 v[154:155], v[20:21], -v[12:13]
	s_waitcnt vmcnt(3)
	v_add_f64 v[20:21], v[40:41], v[36:37]
	s_waitcnt vmcnt(0)
	v_add_f64 v[156:157], v[28:29], v[24:25]
	v_add_f64 v[6:7], v[6:7], -v[18:19]
	v_add_f64 v[142:143], v[98:99], v[86:87]
	v_add_f64 v[146:147], v[102:103], v[98:99]
	v_add_f64 v[4:5], v[4:5], -v[16:17]
	v_add_f64 v[22:23], v[22:23], -v[14:15]
	;; [unrolled: 1-line block ×3, first 2 shown]
	v_add_f64 v[158:159], v[80:81], v[72:73]
	v_add_f64 v[160:161], v[82:83], v[74:75]
	;; [unrolled: 1-line block ×4, first 2 shown]
	v_add_f64 v[98:99], v[98:99], -v[102:103]
	v_add_f64 v[82:83], v[82:83], -v[78:79]
	;; [unrolled: 1-line block ×4, first 2 shown]
	s_mov_b32 s6, 0xe8584caa
	s_mov_b32 s7, 0x3febb67a
	;; [unrolled: 1-line block ×4, first 2 shown]
	v_fma_f64 v[0:1], v[112:113], -0.5, v[0:1]
	v_add_f64 v[16:17], v[16:17], v[108:109]
	v_add_f64 v[170:171], v[18:19], v[110:111]
	v_fma_f64 v[8:9], v[120:121], -0.5, v[8:9]
	v_fma_f64 v[18:19], v[128:129], -0.5, v[88:89]
	;; [unrolled: 1-line block ×3, first 2 shown]
	v_add_f64 v[90:91], v[62:63], v[70:71]
	v_add_f64 v[108:109], v[66:67], v[62:63]
	v_fma_f64 v[84:85], v[144:145], -0.5, v[84:85]
	v_fma_f64 v[72:73], v[148:149], -0.5, v[72:73]
	;; [unrolled: 1-line block ×3, first 2 shown]
	v_add_f64 v[62:63], v[62:63], -v[66:67]
	v_fma_f64 v[2:3], v[114:115], -0.5, v[2:3]
	v_add_f64 v[172:173], v[14:15], v[118:119]
	v_fma_f64 v[14:15], v[122:123], -0.5, v[10:11]
	v_add_f64 v[10:11], v[92:93], v[124:125]
	v_add_f64 v[92:93], v[94:95], v[126:127]
	;; [unrolled: 1-line block ×6, first 2 shown]
	v_fma_f64 v[56:57], v[152:153], -0.5, v[56:57]
	v_add_f64 v[50:51], v[50:51], -v[54:55]
	v_add_f64 v[114:115], v[36:37], v[44:45]
	v_fma_f64 v[20:21], v[20:21], -0.5, v[44:45]
	v_add_f64 v[44:45], v[38:39], -v[42:43]
	v_add_f64 v[12:13], v[12:13], v[116:117]
	v_add_f64 v[116:117], v[24:25], v[32:33]
	v_fma_f64 v[32:33], v[156:157], -0.5, v[32:33]
	v_add_f64 v[118:119], v[26:27], -v[30:31]
	v_add_f64 v[122:123], v[38:39], v[46:47]
	v_add_f64 v[38:39], v[42:43], v[38:39]
	;; [unrolled: 1-line block ×5, first 2 shown]
	v_add_f64 v[80:81], v[80:81], -v[76:77]
	v_add_f64 v[76:77], v[76:77], v[158:159]
	v_add_f64 v[60:61], v[60:61], -v[64:65]
	v_fma_f64 v[126:127], v[6:7], s[6:7], v[0:1]
	v_fma_f64 v[0:1], v[6:7], s[8:9], v[0:1]
	v_fma_f64 v[86:87], v[146:147], -0.5, v[86:87]
	v_fma_f64 v[6:7], v[22:23], s[6:7], v[8:9]
	v_fma_f64 v[8:9], v[22:23], s[8:9], v[8:9]
	;; [unrolled: 1-line block ×3, first 2 shown]
	v_add_f64 v[66:67], v[66:67], v[90:91]
	v_fma_f64 v[18:19], v[106:107], s[8:9], v[18:19]
	v_fma_f64 v[90:91], v[98:99], s[6:7], v[84:85]
	;; [unrolled: 1-line block ×7, first 2 shown]
	v_fma_f64 v[74:75], v[162:163], -0.5, v[74:75]
	v_fma_f64 v[70:71], v[108:109], -0.5, v[70:71]
	v_add_f64 v[48:49], v[48:49], -v[52:53]
	v_add_f64 v[36:37], v[36:37], -v[40:41]
	v_add_f64 v[64:65], v[52:53], v[100:101]
	v_fma_f64 v[58:59], v[110:111], -0.5, v[58:59]
	v_mad_u32_u24 v157, v202, 24, 0
	v_mad_i32_i24 v140, v138, 24, 0
	v_fma_f64 v[68:69], v[50:51], s[6:7], v[56:57]
	v_fma_f64 v[50:51], v[50:51], s[8:9], v[56:57]
	v_add_f64 v[56:57], v[40:41], v[114:115]
	v_fma_f64 v[100:101], v[44:45], s[6:7], v[20:21]
	v_fma_f64 v[20:21], v[44:45], s[8:9], v[20:21]
	v_add_f64 v[44:45], v[28:29], v[116:117]
	v_mad_i32_i24 v141, v139, 24, 0
	v_fma_f64 v[106:107], v[118:119], s[6:7], v[32:33]
	v_fma_f64 v[32:33], v[118:119], s[8:9], v[32:33]
	v_fma_f64 v[38:39], v[38:39], -0.5, v[46:47]
	v_add_f64 v[46:47], v[24:25], -v[28:29]
	v_fma_f64 v[34:35], v[26:27], -0.5, v[34:35]
	v_mad_i32_i24 v147, v203, 24, 0
	v_mad_i32_i24 v158, v132, 24, 0
	s_load_b64 s[2:3], s[2:3], 0x0
	v_fma_f64 v[52:53], v[4:5], s[8:9], v[2:3]
	ds_store_2addr_b64 v157, v[16:17], v[126:127] offset1:1
	ds_store_b64 v157, v[0:1] offset:16
	v_mad_i32_i24 v127, v131, 24, 0
	ds_store_2addr_b64 v140, v[12:13], v[6:7] offset1:1
	ds_store_b64 v140, v[8:9] offset:16
	ds_store_2addr_b64 v141, v[10:11], v[22:23] offset1:1
	ds_store_b64 v141, v[18:19] offset:16
	;; [unrolled: 2-line block ×4, first 2 shown]
	v_mad_i32_i24 v84, v133, 24, 0
	ds_store_2addr_b64 v158, v[120:121], v[82:83] offset1:1
	ds_store_b64 v158, v[62:63] offset:16
	v_mad_i32_i24 v82, v134, 24, 0
	v_mad_i32_i24 v83, v130, 24, 0
	ds_store_2addr_b64 v84, v[64:65], v[68:69] offset1:1
	ds_store_b64 v84, v[50:51] offset:16
	ds_store_2addr_b64 v82, v[56:57], v[100:101] offset1:1
	ds_store_b64 v82, v[20:21] offset:16
	;; [unrolled: 2-line block ×3, first 2 shown]
	v_fma_f64 v[44:45], v[154:155], s[8:9], v[14:15]
	v_fma_f64 v[128:129], v[4:5], s[6:7], v[2:3]
	;; [unrolled: 1-line block ×3, first 2 shown]
	v_add_f64 v[102:103], v[102:103], v[142:143]
	v_add_f64 v[78:79], v[78:79], v[160:161]
	v_fma_f64 v[56:57], v[104:105], s[8:9], v[88:89]
	v_fma_f64 v[64:65], v[96:97], s[8:9], v[86:87]
	;; [unrolled: 1-line block ×6, first 2 shown]
	v_add_f64 v[54:55], v[54:55], v[112:113]
	v_add_f64 v[42:43], v[42:43], v[122:123]
	v_fma_f64 v[76:77], v[60:61], s[8:9], v[70:71]
	v_fma_f64 v[60:61], v[60:61], s[6:7], v[70:71]
	;; [unrolled: 1-line block ×6, first 2 shown]
	v_add_f64 v[40:41], v[30:31], v[124:125]
	v_fma_f64 v[38:39], v[46:47], s[8:9], v[34:35]
	v_fma_f64 v[46:47], v[46:47], s[6:7], v[34:35]
	v_and_b32_e32 v169, 0xff, v202
	v_lshl_add_u32 v142, v202, 3, 0
	v_lshlrev_b32_e32 v4, 4, v131
	v_lshlrev_b32_e32 v148, 4, v138
	v_lshlrev_b32_e32 v12, 4, v132
	v_mul_lo_u16 v80, 0xab, v169
	v_lshlrev_b32_e32 v149, 4, v139
	v_lshlrev_b32_e32 v16, 4, v133
	;; [unrolled: 1-line block ×5, first 2 shown]
	v_add_nc_u32_e32 v143, 0x1000, v142
	v_add_nc_u32_e32 v144, 0x2000, v142
	;; [unrolled: 1-line block ×4, first 2 shown]
	v_sub_nc_u32_e32 v136, v127, v4
	v_lshrrev_b16 v126, 9, v80
	v_and_b32_e32 v168, 0xff, v138
	v_sub_nc_u32_e32 v151, v140, v148
	v_sub_nc_u32_e32 v137, v158, v12
	v_sub_nc_u32_e32 v152, v141, v149
	v_sub_nc_u32_e32 v153, v84, v16
	v_sub_nc_u32_e32 v135, v147, v150
	v_sub_nc_u32_e32 v154, v82, v32
	v_sub_nc_u32_e32 v155, v83, v33
	s_waitcnt lgkmcnt(0)
	s_barrier
	buffer_gl0_inv
	ds_load_2addr_b64 v[24:27], v143 offset0:55 offset1:118
	ds_load_2addr_b64 v[0:3], v144 offset0:47 offset1:110
	;; [unrolled: 1-line block ×4, first 2 shown]
	ds_load_b64 v[114:115], v142
	ds_load_b64 v[112:113], v151
	ds_load_b64 v[110:111], v152
	ds_load_b64 v[108:109], v135
	ds_load_2addr_b64 v[8:11], v145 offset0:43 offset1:106
	ds_load_2addr_b64 v[4:7], v146 offset0:51 offset1:114
	;; [unrolled: 1-line block ×4, first 2 shown]
	v_add_nc_u32_e32 v156, 0x3000, v142
	ds_load_b64 v[124:125], v136
	ds_load_b64 v[122:123], v137
	ds_load_b64 v[120:121], v153
	ds_load_b64 v[118:119], v154
	ds_load_b64 v[116:117], v155
	ds_load_2addr_b64 v[32:35], v156 offset0:39 offset1:102
	s_waitcnt lgkmcnt(0)
	s_barrier
	buffer_gl0_inv
	ds_store_2addr_b64 v157, v[170:171], v[52:53] offset1:1
	ds_store_b64 v157, v[128:129] offset:16
	ds_store_2addr_b64 v140, v[172:173], v[44:45] offset1:1
	ds_store_b64 v140, v[50:51] offset:16
	v_mul_lo_u16 v44, v126, 3
	v_mul_lo_u16 v45, 0xab, v168
	ds_store_2addr_b64 v141, v[92:93], v[56:57] offset1:1
	ds_store_b64 v141, v[62:63] offset:16
	ds_store_2addr_b64 v147, v[102:103], v[64:65] offset1:1
	ds_store_b64 v147, v[68:69] offset:16
	;; [unrolled: 2-line block ×3, first 2 shown]
	v_sub_nc_u16 v44, v202, v44
	v_lshrrev_b16 v127, 9, v45
	v_and_b32_e32 v157, 0xff, v139
	ds_store_2addr_b64 v158, v[66:67], v[76:77] offset1:1
	ds_store_b64 v158, v[60:61] offset:16
	ds_store_2addr_b64 v84, v[54:55], v[70:71] offset1:1
	ds_store_b64 v84, v[48:49] offset:16
	v_and_b32_e32 v128, 0xff, v44
	v_mul_lo_u16 v44, v127, 3
	v_mul_lo_u16 v45, 0xab, v157
	ds_store_2addr_b64 v82, v[42:43], v[58:59] offset1:1
	ds_store_b64 v82, v[36:37] offset:16
	ds_store_2addr_b64 v83, v[40:41], v[38:39] offset1:1
	ds_store_b64 v83, v[46:47] offset:16
	v_and_b32_e32 v158, 0xff, v203
	v_and_b32_e32 v159, 0xffff, v131
	v_sub_nc_u16 v36, v138, v44
	v_lshrrev_b16 v129, 9, v45
	v_lshlrev_b32_e32 v64, 5, v128
	v_mul_lo_u16 v37, 0xab, v158
	v_mul_u32_u24_e32 v54, 0xaaab, v159
	v_and_b32_e32 v172, 0xff, v36
	v_mul_lo_u16 v36, v129, 3
	v_and_b32_e32 v160, 0xffff, v132
	v_lshrrev_b16 v174, 9, v37
	s_waitcnt lgkmcnt(0)
	v_lshlrev_b32_e32 v44, 5, v172
	v_sub_nc_u16 v45, v139, v36
	s_barrier
	buffer_gl0_inv
	global_load_b128 v[40:43], v64, s[4:5]
	v_and_b32_e32 v163, 0xffff, v133
	v_and_b32_e32 v173, 0xff, v45
	v_mul_lo_u16 v45, v174, 3
	v_lshrrev_b32_e32 v176, 17, v54
	s_clause 0x1
	global_load_b128 v[36:39], v44, s[4:5]
	global_load_b128 v[48:51], v44, s[4:5] offset:16
	v_mul_u32_u24_e32 v65, 0xaaab, v163
	v_sub_nc_u16 v53, v203, v45
	v_mul_lo_u16 v66, v176, 3
	v_lshlrev_b32_e32 v52, 5, v173
	v_and_b32_e32 v161, 0xffff, v130
	v_lshrrev_b32_e32 v178, 17, v65
	v_and_b32_e32 v175, 0xff, v53
	v_mul_u32_u24_e32 v53, 0xaaab, v160
	v_sub_nc_u16 v65, v131, v66
	s_clause 0x1
	global_load_b128 v[44:47], v52, s[4:5] offset:16
	global_load_b128 v[60:63], v52, s[4:5]
	v_lshlrev_b32_e32 v54, 5, v175
	v_lshrrev_b32_e32 v177, 17, v53
	s_clause 0x1
	global_load_b128 v[56:59], v54, s[4:5]
	global_load_b128 v[52:55], v54, s[4:5] offset:16
	v_mul_lo_u16 v66, v177, 3
	global_load_b128 v[104:107], v64, s[4:5] offset:16
	v_and_b32_e32 v162, 0xffff, v134
	v_mul_lo_u16 v67, v178, 3
	v_and_b32_e32 v184, 0xffff, v65
	v_sub_nc_u16 v66, v132, v66
	v_mul_u32_u24_e32 v65, 0xaaab, v161
	v_mul_u32_u24_e32 v222, 0x48, v177
	v_sub_nc_u16 v67, v133, v67
	v_lshlrev_b32_e32 v68, 5, v184
	v_and_b32_e32 v181, 0xffff, v66
	v_lshrrev_b32_e32 v179, 17, v65
	v_mul_u32_u24_e32 v223, 0x48, v178
	v_and_b32_e32 v180, 0xffff, v67
	v_and_b32_e32 v126, 0xffff, v126
	v_lshlrev_b32_e32 v74, 5, v181
	v_mul_lo_u16 v73, v179, 3
	v_and_b32_e32 v127, 0xffff, v127
	v_lshlrev_b32_e32 v84, 5, v180
	v_and_b32_e32 v129, 0xffff, v129
	global_load_b128 v[76:79], v74, s[4:5]
	v_mul_u32_u24_e32 v64, 0xaaab, v162
	v_sub_nc_u16 v80, v130, v73
	v_mul_u32_u24_e32 v201, 0x48, v176
	v_mul_u32_u24_e32 v204, 0x48, v127
	;; [unrolled: 1-line block ×3, first 2 shown]
	v_lshrrev_b32_e32 v197, 17, v64
	global_load_b128 v[64:67], v68, s[4:5] offset:16
	v_and_b32_e32 v183, 0xffff, v80
	s_clause 0x1
	global_load_b128 v[80:83], v84, s[4:5] offset:16
	global_load_b128 v[84:87], v84, s[4:5]
	v_mul_lo_u16 v72, v197, 3
	global_load_b128 v[68:71], v68, s[4:5]
	v_lshlrev_b32_e32 v100, 5, v183
	v_mul_u32_u24_e32 v224, 0x48, v197
	v_lshlrev_b32_e32 v206, 3, v173
	v_sub_nc_u16 v72, v134, v72
	v_lshlrev_b32_e32 v207, 3, v175
	v_lshlrev_b32_e32 v172, 3, v172
	;; [unrolled: 1-line block ×3, first 2 shown]
	v_add3_u32 v228, 0, v205, v206
	v_and_b32_e32 v182, 0xffff, v72
	global_load_b128 v[72:75], v74, s[4:5] offset:16
	v_add3_u32 v227, 0, v204, v172
	v_lshlrev_b32_e32 v172, 3, v184
	v_lshlrev_b32_e32 v180, 3, v180
	;; [unrolled: 1-line block ×3, first 2 shown]
	s_clause 0x3
	global_load_b128 v[88:91], v96, s[4:5]
	global_load_b128 v[92:95], v100, s[4:5]
	global_load_b128 v[96:99], v96, s[4:5] offset:16
	global_load_b128 v[100:103], v100, s[4:5] offset:16
	ds_load_2addr_b64 v[185:188], v143 offset0:55 offset1:118
	ds_load_2addr_b64 v[189:192], v144 offset0:173 offset1:236
	;; [unrolled: 1-line block ×4, first 2 shown]
	v_add3_u32 v230, 0, v201, v172
	v_lshlrev_b32_e32 v182, 3, v182
	v_add3_u32 v231, 0, v222, v181
	v_add3_u32 v232, 0, v223, v180
	v_mul_lo_u16 v171, v168, 57
	v_mul_u32_u24_e32 v179, 0x48, v179
	v_add3_u32 v235, 0, v224, v182
	v_lshlrev_b32_e32 v183, 3, v183
	v_mul_lo_u16 v170, v169, 57
	v_lshrrev_b16 v171, 9, v171
	v_mul_lo_u16 v233, v157, 57
	v_mul_lo_u16 v169, v169, 19
	v_add3_u32 v236, 0, v179, v183
	v_lshrrev_b16 v170, 9, v170
	v_mul_lo_u16 v181, v171, 9
	v_cmp_gt_u32_e64 s0, 18, v202
	s_delay_alu instid0(VALU_DEP_3) | instskip(NEXT) | instid1(VALU_DEP_3)
	v_mul_lo_u16 v172, v170, 9
	v_sub_nc_u16 v234, v138, v181
	s_delay_alu instid0(VALU_DEP_2) | instskip(NEXT) | instid1(VALU_DEP_1)
	v_sub_nc_u16 v172, v202, v172
	v_and_b32_e32 v172, 0xff, v172
	s_waitcnt vmcnt(17) lgkmcnt(3)
	v_mul_f64 v[208:209], v[185:186], v[42:43]
	v_mul_f64 v[42:43], v[24:25], v[42:43]
	s_waitcnt vmcnt(16)
	v_mul_f64 v[210:211], v[187:188], v[38:39]
	v_mul_f64 v[212:213], v[26:27], v[38:39]
	s_waitcnt vmcnt(15) lgkmcnt(2)
	v_mul_f64 v[177:178], v[189:190], v[50:51]
	v_mul_f64 v[50:51], v[28:29], v[50:51]
	v_and_b32_e32 v38, 0xffff, v174
	v_mul_u32_u24_e32 v39, 0x48, v126
	v_lshlrev_b32_e32 v174, 3, v128
	ds_load_2addr_b64 v[126:129], v145 offset0:43 offset1:106
	v_mul_u32_u24_e32 v38, 0x48, v38
	s_waitcnt vmcnt(14)
	v_mul_f64 v[214:215], v[191:192], v[46:47]
	v_mul_f64 v[46:47], v[30:31], v[46:47]
	s_waitcnt vmcnt(13) lgkmcnt(2)
	v_mul_f64 v[216:217], v[193:194], v[62:63]
	v_mul_f64 v[62:63], v[20:21], v[62:63]
	v_add3_u32 v226, 0, v39, v174
	ds_load_2addr_b64 v[173:176], v146 offset0:51 offset1:114
	s_waitcnt vmcnt(12)
	v_mul_f64 v[218:219], v[195:196], v[58:59]
	v_mul_f64 v[58:59], v[22:23], v[58:59]
	v_add3_u32 v229, 0, v38, v207
	s_waitcnt vmcnt(10) lgkmcnt(2)
	v_mul_f64 v[220:221], v[199:200], v[106:107]
	v_mul_f64 v[106:107], v[2:3], v[106:107]
	ds_load_2addr_b64 v[204:207], v145 offset0:169 offset1:232
	v_fma_f64 v[208:209], v[24:25], v[40:41], -v[208:209]
	v_fma_f64 v[42:43], v[185:186], v[40:41], v[42:43]
	ds_load_2addr_b64 v[38:41], v146 offset0:177 offset1:240
	v_fma_f64 v[184:185], v[26:27], v[36:37], -v[210:211]
	ds_load_2addr_b64 v[24:27], v156 offset0:39 offset1:102
	v_fma_f64 v[36:37], v[187:188], v[36:37], v[212:213]
	s_waitcnt lgkmcnt(4)
	v_mul_f64 v[186:187], v[126:127], v[54:55]
	v_fma_f64 v[28:29], v[28:29], v[48:49], -v[177:178]
	v_fma_f64 v[48:49], v[189:190], v[48:49], v[50:51]
	v_mul_f64 v[54:55], v[8:9], v[54:55]
	s_waitcnt vmcnt(9) lgkmcnt(3)
	v_mul_f64 v[177:178], v[175:176], v[78:79]
	s_waitcnt vmcnt(8)
	v_mul_f64 v[210:211], v[128:129], v[66:67]
	v_mul_f64 v[66:67], v[10:11], v[66:67]
	;; [unrolled: 1-line block ×3, first 2 shown]
	v_fma_f64 v[30:31], v[30:31], v[44:45], -v[214:215]
	v_fma_f64 v[44:45], v[191:192], v[44:45], v[46:47]
	s_waitcnt vmcnt(5)
	v_mul_f64 v[50:51], v[173:174], v[70:71]
	v_mul_f64 v[70:71], v[4:5], v[70:71]
	s_waitcnt lgkmcnt(2)
	v_mul_f64 v[188:189], v[206:207], v[82:83]
	v_mul_f64 v[82:83], v[14:15], v[82:83]
	v_fma_f64 v[20:21], v[20:21], v[60:61], -v[216:217]
	v_fma_f64 v[60:61], v[193:194], v[60:61], v[62:63]
	s_waitcnt lgkmcnt(1)
	v_mul_f64 v[62:63], v[38:39], v[86:87]
	v_mul_f64 v[86:87], v[16:17], v[86:87]
	v_fma_f64 v[22:23], v[22:23], v[56:57], -v[218:219]
	v_fma_f64 v[56:57], v[195:196], v[56:57], v[58:59]
	s_waitcnt vmcnt(4)
	v_mul_f64 v[46:47], v[204:205], v[74:75]
	v_mul_f64 v[74:75], v[12:13], v[74:75]
	v_fma_f64 v[2:3], v[2:3], v[104:105], -v[220:221]
	v_fma_f64 v[104:105], v[199:200], v[104:105], v[106:107]
	s_waitcnt vmcnt(3)
	v_mul_f64 v[190:191], v[40:41], v[90:91]
	v_mul_f64 v[90:91], v[18:19], v[90:91]
	s_waitcnt vmcnt(1) lgkmcnt(0)
	v_mul_f64 v[192:193], v[24:25], v[98:99]
	v_mul_f64 v[98:99], v[32:33], v[98:99]
	;; [unrolled: 1-line block ×4, first 2 shown]
	s_waitcnt vmcnt(0)
	v_mul_f64 v[106:107], v[26:27], v[102:103]
	v_mul_f64 v[102:103], v[34:35], v[102:103]
	v_fma_f64 v[8:9], v[8:9], v[52:53], -v[186:187]
	v_fma_f64 v[52:53], v[126:127], v[52:53], v[54:55]
	v_fma_f64 v[6:7], v[6:7], v[76:77], -v[177:178]
	v_fma_f64 v[10:11], v[10:11], v[64:65], -v[210:211]
	v_fma_f64 v[54:55], v[128:129], v[64:65], v[66:67]
	v_fma_f64 v[64:65], v[175:176], v[76:77], v[78:79]
	v_add_f64 v[210:211], v[36:37], v[48:49]
	v_fma_f64 v[4:5], v[4:5], v[68:69], -v[50:51]
	v_fma_f64 v[50:51], v[173:174], v[68:69], v[70:71]
	v_fma_f64 v[14:15], v[14:15], v[80:81], -v[188:189]
	v_fma_f64 v[66:67], v[206:207], v[80:81], v[82:83]
	v_add_f64 v[212:213], v[60:61], v[44:45]
	v_fma_f64 v[16:17], v[16:17], v[84:85], -v[62:63]
	v_fma_f64 v[38:39], v[38:39], v[84:85], v[86:87]
	v_add_f64 v[86:87], v[114:115], v[208:209]
	v_fma_f64 v[12:13], v[12:13], v[72:73], -v[46:47]
	v_fma_f64 v[46:47], v[204:205], v[72:73], v[74:75]
	ds_load_b64 v[62:63], v142
	ds_load_b64 v[68:69], v151
	;; [unrolled: 1-line block ×9, first 2 shown]
	v_add_f64 v[84:85], v[208:209], v[2:3]
	s_waitcnt lgkmcnt(0)
	s_barrier
	v_fma_f64 v[18:19], v[18:19], v[88:89], -v[190:191]
	v_fma_f64 v[40:41], v[40:41], v[88:89], v[90:91]
	v_fma_f64 v[32:33], v[32:33], v[96:97], -v[192:193]
	v_fma_f64 v[24:25], v[24:25], v[96:97], v[98:99]
	;; [unrolled: 2-line block ×4, first 2 shown]
	v_add_f64 v[88:89], v[42:43], -v[104:105]
	v_add_f64 v[90:91], v[184:185], v[28:29]
	v_add_f64 v[200:201], v[62:63], v[42:43]
	;; [unrolled: 1-line block ×5, first 2 shown]
	v_add_f64 v[94:95], v[36:37], -v[48:49]
	v_add_f64 v[214:215], v[56:57], v[52:53]
	v_add_f64 v[36:37], v[68:69], v[36:37]
	v_add_f64 v[100:101], v[60:61], -v[44:45]
	v_add_f64 v[60:61], v[70:71], v[60:61]
	v_add_f64 v[92:93], v[112:113], v[184:185]
	v_add_f64 v[98:99], v[110:111], v[20:21]
	v_add_f64 v[106:107], v[108:109], v[22:23]
	v_add_f64 v[128:129], v[4:5], v[10:11]
	v_add_f64 v[216:217], v[50:51], v[54:55]
	v_add_f64 v[175:176], v[50:51], -v[54:55]
	v_add_f64 v[198:199], v[208:209], -v[2:3]
	v_add_f64 v[50:51], v[74:75], v[50:51]
	v_add_f64 v[126:127], v[56:57], -v[52:53]
	v_add_f64 v[186:187], v[16:17], v[14:15]
	v_add_f64 v[220:221], v[38:39], v[66:67]
	v_add_f64 v[190:191], v[38:39], -v[66:67]
	v_add_f64 v[38:39], v[78:79], v[38:39]
	v_add_f64 v[177:178], v[6:7], v[12:13]
	;; [unrolled: 1-line block ×3, first 2 shown]
	v_add_f64 v[181:182], v[64:65], -v[46:47]
	v_add_f64 v[64:65], v[76:77], v[64:65]
	v_fma_f64 v[84:85], v[84:85], -0.5, v[114:115]
	v_add_f64 v[56:57], v[72:73], v[56:57]
	v_add_f64 v[183:184], v[184:185], -v[28:29]
	v_add_f64 v[173:174], v[124:125], v[4:5]
	v_add_f64 v[192:193], v[18:19], v[32:33]
	;; [unrolled: 1-line block ×3, first 2 shown]
	v_add_f64 v[20:21], v[20:21], -v[30:31]
	v_fma_f64 v[70:71], v[212:213], -0.5, v[70:71]
	v_add_f64 v[204:205], v[0:1], v[34:35]
	v_add_f64 v[224:225], v[58:59], v[26:27]
	v_add_f64 v[22:23], v[22:23], -v[8:9]
	v_fma_f64 v[90:91], v[90:91], -0.5, v[112:113]
	v_add_f64 v[4:5], v[4:5], -v[10:11]
	v_fma_f64 v[42:43], v[42:43], -0.5, v[62:63]
	v_fma_f64 v[102:103], v[102:103], -0.5, v[108:109]
	v_fma_f64 v[62:63], v[210:211], -0.5, v[68:69]
	v_fma_f64 v[96:97], v[96:97], -0.5, v[110:111]
	v_fma_f64 v[72:73], v[214:215], -0.5, v[72:73]
	v_add_f64 v[36:37], v[36:37], v[48:49]
	v_add_f64 v[179:180], v[122:123], v[6:7]
	v_add_f64 v[6:7], v[6:7], -v[12:13]
	v_add_f64 v[2:3], v[86:87], v[2:3]
	v_add_f64 v[44:45], v[60:61], v[44:45]
	v_add_f64 v[188:189], v[120:121], v[16:17]
	v_fma_f64 v[108:109], v[128:129], -0.5, v[124:125]
	v_fma_f64 v[48:49], v[216:217], -0.5, v[74:75]
	v_add_f64 v[16:17], v[16:17], -v[14:15]
	v_add_f64 v[28:29], v[92:93], v[28:29]
	v_add_f64 v[194:195], v[118:119], v[18:19]
	v_add_f64 v[196:197], v[40:41], -v[24:25]
	v_fma_f64 v[92:93], v[186:187], -0.5, v[120:121]
	v_fma_f64 v[74:75], v[220:221], -0.5, v[78:79]
	v_add_f64 v[18:19], v[18:19], -v[32:33]
	v_add_f64 v[40:41], v[80:81], v[40:41]
	v_fma_f64 v[86:87], v[177:178], -0.5, v[122:123]
	v_fma_f64 v[60:61], v[218:219], -0.5, v[76:77]
	v_add_f64 v[30:31], v[98:99], v[30:31]
	v_add_f64 v[206:207], v[58:59], -v[26:27]
	v_add_f64 v[208:209], v[116:117], v[0:1]
	v_add_f64 v[0:1], v[0:1], -v[34:35]
	v_add_f64 v[58:59], v[82:83], v[58:59]
	v_add_f64 v[8:9], v[106:107], v[8:9]
	v_fma_f64 v[98:99], v[192:193], -0.5, v[118:119]
	v_fma_f64 v[76:77], v[222:223], -0.5, v[80:81]
	v_add_f64 v[68:69], v[200:201], v[104:105]
	v_add_f64 v[50:51], v[50:51], v[54:55]
	v_fma_f64 v[106:107], v[204:205], -0.5, v[116:117]
	v_fma_f64 v[78:79], v[224:225], -0.5, v[82:83]
	v_add_f64 v[46:47], v[64:65], v[46:47]
	v_add_f64 v[38:39], v[38:39], v[66:67]
	v_fma_f64 v[54:55], v[88:89], s[6:7], v[84:85]
	v_fma_f64 v[64:65], v[94:95], s[6:7], v[90:91]
	v_fma_f64 v[66:67], v[94:95], s[8:9], v[90:91]
	v_add_f64 v[52:53], v[56:57], v[52:53]
	v_fma_f64 v[56:57], v[88:89], s[8:9], v[84:85]
	v_fma_f64 v[110:111], v[183:184], s[8:9], v[62:63]
	v_fma_f64 v[62:63], v[183:184], s[6:7], v[62:63]
	;; [unrolled: 4-line block ×3, first 2 shown]
	v_fma_f64 v[70:71], v[20:21], s[6:7], v[70:71]
	v_fma_f64 v[90:91], v[175:176], s[6:7], v[108:109]
	;; [unrolled: 1-line block ×11, first 2 shown]
	v_add_f64 v[12:13], v[179:180], v[12:13]
	v_fma_f64 v[96:97], v[181:182], s[6:7], v[86:87]
	v_fma_f64 v[179:180], v[6:7], s[8:9], v[60:61]
	;; [unrolled: 1-line block ×4, first 2 shown]
	v_add_f64 v[14:15], v[188:189], v[14:15]
	v_fma_f64 v[100:101], v[190:191], s[6:7], v[92:93]
	v_fma_f64 v[181:182], v[16:17], s[8:9], v[74:75]
	;; [unrolled: 1-line block ×4, first 2 shown]
	v_add_f64 v[32:33], v[194:195], v[32:33]
	v_fma_f64 v[102:103], v[196:197], s[6:7], v[98:99]
	v_add_f64 v[40:41], v[40:41], v[24:25]
	v_fma_f64 v[183:184], v[18:19], s[8:9], v[76:77]
	v_fma_f64 v[98:99], v[196:197], s[8:9], v[98:99]
	;; [unrolled: 1-line block ×3, first 2 shown]
	v_add_f64 v[34:35], v[208:209], v[34:35]
	v_fma_f64 v[104:105], v[206:207], s[6:7], v[106:107]
	v_add_f64 v[58:59], v[58:59], v[26:27]
	v_fma_f64 v[185:186], v[0:1], s[8:9], v[78:79]
	v_fma_f64 v[106:107], v[206:207], s[8:9], v[106:107]
	;; [unrolled: 1-line block ×3, first 2 shown]
	buffer_gl0_inv
	ds_store_2addr_b64 v226, v[2:3], v[54:55] offset1:3
	ds_store_b64 v226, v[56:57] offset:48
	ds_store_2addr_b64 v227, v[28:29], v[64:65] offset1:3
	ds_store_b64 v227, v[66:67] offset:48
	ds_store_2addr_b64 v228, v[30:31], v[80:81] offset1:3
	ds_store_b64 v228, v[82:83] offset:48
	ds_store_2addr_b64 v229, v[8:9], v[84:85] offset1:3
	ds_store_b64 v229, v[88:89] offset:48
	ds_store_2addr_b64 v230, v[10:11], v[90:91] offset1:3
	ds_store_b64 v230, v[94:95] offset:48
	ds_store_2addr_b64 v231, v[12:13], v[96:97] offset1:3
	ds_store_b64 v231, v[86:87] offset:48
	ds_store_2addr_b64 v232, v[14:15], v[100:101] offset1:3
	ds_store_b64 v232, v[92:93] offset:48
	ds_store_2addr_b64 v235, v[32:33], v[102:103] offset1:3
	ds_store_b64 v235, v[98:99] offset:48
	ds_store_2addr_b64 v236, v[34:35], v[104:105] offset1:3
	ds_store_b64 v236, v[106:107] offset:48
	s_waitcnt lgkmcnt(0)
	s_barrier
	buffer_gl0_inv
	ds_load_b64 v[128:129], v142
	ds_load_b64 v[126:127], v151
	;; [unrolled: 1-line block ×9, first 2 shown]
	ds_load_2addr_b64 v[32:35], v143 offset0:55 offset1:118
	ds_load_2addr_b64 v[0:3], v144 offset0:47 offset1:110
	;; [unrolled: 1-line block ×9, first 2 shown]
	s_waitcnt lgkmcnt(0)
	s_barrier
	buffer_gl0_inv
	ds_store_2addr_b64 v226, v[68:69], v[108:109] offset1:3
	ds_store_b64 v226, v[42:43] offset:48
	ds_store_2addr_b64 v227, v[36:37], v[110:111] offset1:3
	ds_store_b64 v227, v[62:63] offset:48
	;; [unrolled: 2-line block ×9, first 2 shown]
	v_lshrrev_b16 v176, 9, v233
	v_lshlrev_b32_e32 v68, 5, v172
	v_and_b32_e32 v175, 0xff, v234
	s_waitcnt lgkmcnt(0)
	s_barrier
	v_mul_lo_u16 v45, v176, 9
	buffer_gl0_inv
	global_load_b128 v[36:39], v68, s[4:5] offset:96
	v_mul_lo_u16 v46, v158, 57
	v_lshlrev_b32_e32 v44, 5, v175
	v_sub_nc_u16 v45, v139, v45
	v_mul_u32_u24_e32 v58, 0xe38f, v160
	global_load_b128 v[88:91], v68, s[4:5] offset:112
	v_lshrrev_b16 v178, 9, v46
	s_clause 0x1
	global_load_b128 v[40:43], v44, s[4:5] offset:96
	global_load_b128 v[52:55], v44, s[4:5] offset:112
	v_and_b32_e32 v177, 0xff, v45
	v_mul_u32_u24_e32 v45, 0xe38f, v159
	v_mul_lo_u16 v46, v178, 9
	v_lshrrev_b32_e32 v182, 19, v58
	v_mul_u32_u24_e32 v70, 0xe38f, v163
	v_lshlrev_b32_e32 v44, 5, v177
	v_lshrrev_b32_e32 v181, 19, v45
	v_sub_nc_u16 v45, v203, v46
	v_mul_u32_u24_e32 v72, 0xe38f, v162
	v_mul_lo_u16 v71, v182, 9
	global_load_b128 v[48:51], v44, s[4:5] offset:112
	v_mul_lo_u16 v46, v181, 9
	v_and_b32_e32 v179, 0xff, v45
	v_mul_u32_u24_e32 v68, 0xe38f, v161
	v_lshrrev_b32_e32 v189, 19, v70
	v_lshrrev_b32_e32 v184, 19, v72
	v_sub_nc_u16 v56, v131, v46
	v_lshlrev_b32_e32 v57, 5, v179
	global_load_b128 v[44:47], v44, s[4:5] offset:96
	v_lshrrev_b32_e32 v185, 19, v68
	v_sub_nc_u16 v70, v132, v71
	v_and_b32_e32 v180, 0xffff, v56
	s_clause 0x1
	global_load_b128 v[60:63], v57, s[4:5] offset:96
	global_load_b128 v[56:59], v57, s[4:5] offset:112
	v_mul_lo_u16 v71, v189, 9
	v_mul_lo_u16 v68, v184, 9
	;; [unrolled: 1-line block ×3, first 2 shown]
	v_and_b32_e32 v183, 0xffff, v70
	v_lshlrev_b32_e32 v69, 5, v180
	v_sub_nc_u16 v70, v133, v71
	v_sub_nc_u16 v77, v134, v68
	;; [unrolled: 1-line block ×3, first 2 shown]
	v_lshlrev_b32_e32 v76, 5, v183
	global_load_b128 v[64:67], v69, s[4:5] offset:112
	v_and_b32_e32 v186, 0xffff, v70
	v_and_b32_e32 v187, 0xffff, v77
	;; [unrolled: 1-line block ×3, first 2 shown]
	s_clause 0x1
	global_load_b128 v[68:71], v69, s[4:5] offset:96
	global_load_b128 v[72:75], v76, s[4:5] offset:96
	v_lshlrev_b32_e32 v81, 5, v186
	global_load_b128 v[76:79], v76, s[4:5] offset:112
	v_lshlrev_b32_e32 v100, 5, v187
	v_lshlrev_b32_e32 v104, 5, v188
	s_clause 0x5
	global_load_b128 v[92:95], v81, s[4:5] offset:112
	global_load_b128 v[80:83], v81, s[4:5] offset:96
	;; [unrolled: 1-line block ×6, first 2 shown]
	ds_load_2addr_b64 v[108:111], v143 offset0:55 offset1:118
	ds_load_2addr_b64 v[190:193], v144 offset0:173 offset1:236
	v_mul_lo_u16 v173, v168, 19
	v_mul_lo_u16 v194, v157, 19
	;; [unrolled: 1-line block ×3, first 2 shown]
	v_and_b32_e32 v204, 0xffff, v170
	v_lshrrev_b16 v168, 9, v169
	v_lshrrev_b16 v174, 9, v173
	;; [unrolled: 1-line block ×4, first 2 shown]
	ds_load_2addr_b64 v[194:197], v143 offset0:181 offset1:244
	v_mul_u32_u24_e32 v198, 0x2f69, v159
	v_mul_u32_u24_e32 v199, 0x2f69, v160
	;; [unrolled: 1-line block ×3, first 2 shown]
	v_and_b32_e32 v214, 0xffff, v171
	v_mul_u32_u24_e32 v222, 0xd8, v189
	v_mul_u32_u24_e32 v189, 0xd8, v204
	ds_load_2addr_b64 v[204:207], v144 offset0:47 offset1:110
	v_lshrrev_b32_e32 v226, 16, v198
	v_lshrrev_b32_e32 v227, 16, v199
	;; [unrolled: 1-line block ×3, first 2 shown]
	ds_load_2addr_b64 v[198:201], v145 offset0:43 offset1:106
	v_mul_u32_u24_e32 v220, 0xd8, v181
	v_mul_u32_u24_e32 v221, 0xd8, v182
	v_and_b32_e32 v176, 0xffff, v176
	v_and_b32_e32 v178, 0xffff, v178
	v_mul_u32_u24_e32 v230, 0xd8, v214
	v_lshlrev_b32_e32 v172, 3, v172
	v_mul_lo_u16 v223, v168, 27
	v_mul_u32_u24_e32 v231, 0xd8, v176
	v_mul_u32_u24_e32 v232, 0xd8, v178
	v_lshlrev_b32_e32 v178, 3, v175
	v_add3_u32 v172, 0, v189, v172
	v_lshlrev_b32_e32 v189, 3, v177
	v_mul_lo_u16 v229, v174, 27
	v_lshlrev_b32_e32 v179, 3, v179
	v_add3_u32 v230, 0, v230, v178
	v_mul_u32_u24_e32 v185, 0xd8, v185
	v_add3_u32 v231, 0, v231, v189
	v_mul_u32_u24_e32 v184, 0xd8, v184
	v_add3_u32 v232, 0, v232, v179
	v_sub_nc_u16 v179, v138, v229
	v_mul_u32_u24_e32 v224, 0x2f69, v162
	v_mul_u32_u24_e32 v225, 0x2f69, v161
	v_mul_lo_u16 v157, 0xcb, v157
	v_mul_lo_u16 v158, 0xcb, v158
	v_mul_u32_u24_e32 v160, 0x6523, v160
	v_mul_u32_u24_e32 v162, 0x6523, v162
	;; [unrolled: 1-line block ×4, first 2 shown]
	v_and_b32_e32 v174, 0xffff, v174
	s_waitcnt vmcnt(17) lgkmcnt(4)
	v_mul_f64 v[208:209], v[108:109], v[38:39]
	v_mul_f64 v[38:39], v[32:33], v[38:39]
	s_waitcnt vmcnt(16) lgkmcnt(1)
	v_mul_f64 v[218:219], v[206:207], v[90:91]
	v_mul_f64 v[90:91], v[2:3], v[90:91]
	s_waitcnt vmcnt(15)
	v_mul_f64 v[210:211], v[110:111], v[42:43]
	v_mul_f64 v[42:43], v[34:35], v[42:43]
	s_waitcnt vmcnt(14)
	;; [unrolled: 3-line block ×5, first 2 shown]
	v_mul_f64 v[214:215], v[196:197], v[62:63]
	v_mul_f64 v[62:63], v[26:27], v[62:63]
	v_fma_f64 v[175:176], v[32:33], v[36:37], -v[208:209]
	s_waitcnt vmcnt(10) lgkmcnt(0)
	v_mul_f64 v[208:209], v[198:199], v[58:59]
	v_mul_f64 v[58:59], v[20:21], v[58:59]
	v_fma_f64 v[108:109], v[108:109], v[36:37], v[38:39]
	ds_load_2addr_b64 v[36:39], v145 offset0:169 offset1:232
	s_waitcnt vmcnt(9)
	v_mul_f64 v[216:217], v[200:201], v[66:67]
	v_mul_f64 v[66:67], v[22:23], v[66:67]
	v_fma_f64 v[210:211], v[34:35], v[40:41], -v[210:211]
	ds_load_2addr_b64 v[32:35], v146 offset0:51 offset1:114
	v_fma_f64 v[110:111], v[110:111], v[40:41], v[42:43]
	ds_load_2addr_b64 v[40:43], v146 offset0:177 offset1:240
	v_fma_f64 v[177:178], v[28:29], v[52:53], -v[170:171]
	v_fma_f64 v[52:53], v[190:191], v[52:53], v[54:55]
	v_fma_f64 v[2:3], v[2:3], v[88:89], -v[218:219]
	v_fma_f64 v[88:89], v[206:207], v[88:89], v[90:91]
	v_mul_lo_u16 v170, v169, 27
	v_sub_nc_u16 v171, v202, v223
	v_fma_f64 v[54:55], v[30:31], v[48:49], -v[212:213]
	ds_load_2addr_b64 v[28:31], v156 offset0:39 offset1:102
	v_fma_f64 v[48:49], v[192:193], v[48:49], v[50:51]
	v_sub_nc_u16 v229, v139, v170
	v_and_b32_e32 v170, 0xff, v171
	v_and_b32_e32 v171, 0xff, v179
	v_lshlrev_b32_e32 v179, 3, v180
	v_lshlrev_b32_e32 v180, 3, v183
	v_fma_f64 v[24:25], v[24:25], v[44:45], -v[181:182]
	s_waitcnt vmcnt(8) lgkmcnt(2)
	v_mul_f64 v[50:51], v[32:33], v[70:71]
	v_mul_f64 v[70:71], v[16:17], v[70:71]
	s_waitcnt vmcnt(7)
	v_mul_f64 v[189:190], v[34:35], v[74:75]
	v_mul_f64 v[74:75], v[18:19], v[74:75]
	v_fma_f64 v[44:45], v[194:195], v[44:45], v[46:47]
	s_waitcnt vmcnt(6)
	v_mul_f64 v[46:47], v[36:37], v[78:79]
	v_mul_f64 v[78:79], v[12:13], v[78:79]
	v_fma_f64 v[26:27], v[26:27], v[60:61], -v[214:215]
	s_waitcnt vmcnt(5)
	v_mul_f64 v[181:182], v[38:39], v[94:95]
	v_mul_f64 v[94:95], v[14:15], v[94:95]
	v_fma_f64 v[60:61], v[196:197], v[60:61], v[62:63]
	s_waitcnt vmcnt(4) lgkmcnt(1)
	v_mul_f64 v[62:63], v[40:41], v[82:83]
	v_mul_f64 v[82:83], v[8:9], v[82:83]
	s_waitcnt vmcnt(3)
	v_mul_f64 v[191:192], v[42:43], v[86:87]
	v_mul_f64 v[86:87], v[10:11], v[86:87]
	s_waitcnt vmcnt(1) lgkmcnt(0)
	v_mul_f64 v[193:194], v[28:29], v[102:103]
	v_mul_f64 v[102:103], v[4:5], v[102:103]
	v_fma_f64 v[20:21], v[20:21], v[56:57], -v[208:209]
	v_fma_f64 v[56:57], v[198:199], v[56:57], v[58:59]
	v_mul_f64 v[58:59], v[204:205], v[98:99]
	v_mul_f64 v[98:99], v[0:1], v[98:99]
	s_waitcnt vmcnt(0)
	v_mul_f64 v[90:91], v[30:31], v[106:107]
	v_mul_f64 v[106:107], v[6:7], v[106:107]
	v_fma_f64 v[22:23], v[22:23], v[64:65], -v[216:217]
	v_fma_f64 v[64:65], v[200:201], v[64:65], v[66:67]
	v_add_f64 v[212:213], v[110:111], v[52:53]
	v_lshlrev_b32_e32 v183, 3, v186
	v_lshlrev_b32_e32 v186, 3, v187
	;; [unrolled: 1-line block ×3, first 2 shown]
	v_add3_u32 v233, 0, v220, v179
	v_add3_u32 v235, 0, v221, v180
	;; [unrolled: 1-line block ×5, first 2 shown]
	v_lshlrev_b32_e32 v234, 5, v170
	v_lshlrev_b32_e32 v236, 5, v171
	v_fma_f64 v[16:17], v[16:17], v[68:69], -v[50:51]
	v_fma_f64 v[32:33], v[32:33], v[68:69], v[70:71]
	v_fma_f64 v[18:19], v[18:19], v[72:73], -v[189:190]
	v_fma_f64 v[34:35], v[34:35], v[72:73], v[74:75]
	v_add_f64 v[214:215], v[44:45], v[48:49]
	v_fma_f64 v[12:13], v[12:13], v[76:77], -v[46:47]
	v_fma_f64 v[36:37], v[36:37], v[76:77], v[78:79]
	v_add_f64 v[78:79], v[175:176], v[2:3]
	;; [unrolled: 3-line block ×3, first 2 shown]
	v_fma_f64 v[8:9], v[8:9], v[80:81], -v[62:63]
	v_fma_f64 v[40:41], v[40:41], v[80:81], v[82:83]
	v_fma_f64 v[10:11], v[10:11], v[84:85], -v[191:192]
	v_fma_f64 v[42:43], v[42:43], v[84:85], v[86:87]
	;; [unrolled: 2-line block ×3, first 2 shown]
	v_add_f64 v[84:85], v[210:211], v[177:178]
	v_add_f64 v[82:83], v[108:109], -v[88:89]
	v_fma_f64 v[0:1], v[0:1], v[96:97], -v[58:59]
	v_fma_f64 v[46:47], v[204:205], v[96:97], v[98:99]
	v_fma_f64 v[6:7], v[6:7], v[104:105], -v[90:91]
	v_fma_f64 v[30:31], v[30:31], v[104:105], v[106:107]
	ds_load_b64 v[50:51], v142
	ds_load_b64 v[58:59], v151
	;; [unrolled: 1-line block ×9, first 2 shown]
	v_add_f64 v[98:99], v[26:27], v[20:21]
	v_add_f64 v[216:217], v[60:61], v[56:57]
	v_add_f64 v[80:81], v[128:129], v[175:176]
	v_add_f64 v[96:97], v[44:45], -v[48:49]
	v_add_f64 v[94:95], v[124:125], v[24:25]
	v_add_f64 v[86:87], v[126:127], v[210:211]
	;; [unrolled: 1-line block ×3, first 2 shown]
	v_add_f64 v[102:103], v[60:61], -v[56:57]
	v_add_f64 v[175:176], v[175:176], -v[2:3]
	;; [unrolled: 1-line block ×4, first 2 shown]
	s_waitcnt lgkmcnt(8)
	v_add_f64 v[199:200], v[50:51], v[108:109]
	v_add_f64 v[108:109], v[108:109], v[88:89]
	s_waitcnt lgkmcnt(6)
	v_add_f64 v[44:45], v[62:63], v[44:45]
	v_add_f64 v[104:105], v[16:17], v[22:23]
	;; [unrolled: 1-line block ×3, first 2 shown]
	v_add_f64 v[179:180], v[32:33], -v[64:65]
	s_waitcnt lgkmcnt(5)
	v_add_f64 v[60:61], v[66:67], v[60:61]
	s_waitcnt lgkmcnt(4)
	v_add_f64 v[32:33], v[68:69], v[32:33]
	v_add_f64 v[181:182], v[18:19], v[12:13]
	;; [unrolled: 1-line block ×3, first 2 shown]
	v_fma_f64 v[78:79], v[78:79], -0.5, v[128:129]
	v_add_f64 v[185:186], v[34:35], -v[36:37]
	s_waitcnt lgkmcnt(3)
	v_add_f64 v[34:35], v[70:71], v[34:35]
	v_add_f64 v[110:111], v[58:59], v[110:111]
	;; [unrolled: 1-line block ×4, first 2 shown]
	v_add_f64 v[191:192], v[40:41], -v[38:39]
	s_waitcnt lgkmcnt(2)
	v_add_f64 v[40:41], v[72:73], v[40:41]
	v_add_f64 v[193:194], v[10:11], v[4:5]
	;; [unrolled: 1-line block ×3, first 2 shown]
	v_fma_f64 v[84:85], v[84:85], -0.5, v[126:127]
	v_fma_f64 v[58:59], v[212:213], -0.5, v[58:59]
	v_add_f64 v[24:25], v[24:25], -v[54:55]
	v_fma_f64 v[92:93], v[92:93], -0.5, v[124:125]
	v_add_f64 v[204:205], v[0:1], v[6:7]
	v_add_f64 v[126:127], v[46:47], v[30:31]
	v_fma_f64 v[62:63], v[214:215], -0.5, v[62:63]
	v_add_f64 v[26:27], v[26:27], -v[20:21]
	v_fma_f64 v[98:99], v[98:99], -0.5, v[122:123]
	v_fma_f64 v[66:67], v[216:217], -0.5, v[66:67]
	v_add_f64 v[106:107], v[120:121], v[16:17]
	v_add_f64 v[16:17], v[16:17], -v[22:23]
	v_add_f64 v[183:184], v[118:119], v[18:19]
	v_add_f64 v[18:19], v[18:19], -v[12:13]
	v_add_f64 v[2:3], v[80:81], v[2:3]
	v_add_f64 v[189:190], v[116:117], v[8:9]
	v_add_f64 v[8:9], v[8:9], -v[14:15]
	v_add_f64 v[195:196], v[114:115], v[10:11]
	v_add_f64 v[197:198], v[42:43], -v[28:29]
	v_fma_f64 v[50:51], v[108:109], -0.5, v[50:51]
	v_add_f64 v[44:45], v[44:45], v[48:49]
	v_fma_f64 v[104:105], v[104:105], -0.5, v[120:121]
	v_fma_f64 v[68:69], v[218:219], -0.5, v[68:69]
	v_add_f64 v[10:11], v[10:11], -v[4:5]
	s_waitcnt lgkmcnt(1)
	v_add_f64 v[42:43], v[74:75], v[42:43]
	v_add_f64 v[54:55], v[94:95], v[54:55]
	v_fma_f64 v[80:81], v[181:182], -0.5, v[118:119]
	v_fma_f64 v[48:49], v[220:221], -0.5, v[70:71]
	v_add_f64 v[206:207], v[46:47], -v[30:31]
	v_add_f64 v[208:209], v[112:113], v[0:1]
	v_add_f64 v[0:1], v[0:1], -v[6:7]
	s_waitcnt lgkmcnt(0)
	v_add_f64 v[46:47], v[76:77], v[46:47]
	v_fma_f64 v[116:117], v[187:188], -0.5, v[116:117]
	v_fma_f64 v[70:71], v[222:223], -0.5, v[72:73]
	v_add_f64 v[20:21], v[100:101], v[20:21]
	v_add_f64 v[88:89], v[199:200], v[88:89]
	v_fma_f64 v[94:95], v[193:194], -0.5, v[114:115]
	v_fma_f64 v[72:73], v[128:129], -0.5, v[74:75]
	v_add_f64 v[56:57], v[60:61], v[56:57]
	v_add_f64 v[60:61], v[32:33], v[64:65]
	v_fma_f64 v[32:33], v[82:83], s[6:7], v[78:79]
	v_add_f64 v[36:37], v[34:35], v[36:37]
	v_fma_f64 v[100:101], v[204:205], -0.5, v[112:113]
	v_fma_f64 v[74:75], v[126:127], -0.5, v[76:77]
	v_fma_f64 v[34:35], v[82:83], s[8:9], v[78:79]
	v_add_f64 v[86:87], v[86:87], v[177:178]
	v_add_f64 v[52:53], v[110:111], v[52:53]
	;; [unrolled: 1-line block ×3, first 2 shown]
	v_fma_f64 v[40:41], v[90:91], s[6:7], v[84:85]
	v_fma_f64 v[128:129], v[210:211], s[8:9], v[58:59]
	;; [unrolled: 1-line block ×14, first 2 shown]
	v_add_f64 v[22:23], v[106:107], v[22:23]
	v_fma_f64 v[90:91], v[179:180], s[6:7], v[104:105]
	v_fma_f64 v[92:93], v[179:180], s[8:9], v[104:105]
	v_fma_f64 v[179:180], v[16:17], s[8:9], v[68:69]
	v_fma_f64 v[68:69], v[16:17], s[6:7], v[68:69]
	v_add_f64 v[12:13], v[183:184], v[12:13]
	v_fma_f64 v[96:97], v[185:186], s[6:7], v[80:81]
	v_fma_f64 v[181:182], v[18:19], s[8:9], v[48:49]
	v_fma_f64 v[80:81], v[185:186], s[8:9], v[80:81]
	v_fma_f64 v[48:49], v[18:19], s[6:7], v[48:49]
	;; [unrolled: 5-line block ×3, first 2 shown]
	v_add_f64 v[4:5], v[195:196], v[4:5]
	v_fma_f64 v[104:105], v[197:198], s[6:7], v[94:95]
	v_add_f64 v[42:43], v[42:43], v[28:29]
	v_fma_f64 v[185:186], v[10:11], s[8:9], v[72:73]
	v_fma_f64 v[94:95], v[197:198], s[8:9], v[94:95]
	;; [unrolled: 1-line block ×3, first 2 shown]
	v_add_f64 v[6:7], v[208:209], v[6:7]
	v_fma_f64 v[106:107], v[206:207], s[6:7], v[100:101]
	v_add_f64 v[46:47], v[46:47], v[30:31]
	v_fma_f64 v[187:188], v[0:1], s[8:9], v[74:75]
	v_fma_f64 v[100:101], v[206:207], s[8:9], v[100:101]
	;; [unrolled: 1-line block ×3, first 2 shown]
	s_barrier
	buffer_gl0_inv
	ds_store_2addr_b64 v172, v[2:3], v[32:33] offset1:9
	ds_store_b64 v172, v[34:35] offset:144
	ds_store_2addr_b64 v230, v[86:87], v[40:41] offset1:9
	ds_store_b64 v230, v[64:65] offset:144
	;; [unrolled: 2-line block ×9, first 2 shown]
	s_waitcnt lgkmcnt(0)
	s_barrier
	buffer_gl0_inv
	ds_load_b64 v[124:125], v142
	ds_load_b64 v[122:123], v151
	;; [unrolled: 1-line block ×9, first 2 shown]
	ds_load_2addr_b64 v[32:35], v143 offset0:55 offset1:118
	ds_load_2addr_b64 v[0:3], v144 offset0:47 offset1:110
	ds_load_2addr_b64 v[28:31], v144 offset0:173 offset1:236
	ds_load_2addr_b64 v[24:27], v143 offset0:181 offset1:244
	ds_load_2addr_b64 v[20:23], v145 offset0:43 offset1:106
	ds_load_2addr_b64 v[16:19], v146 offset0:51 offset1:114
	ds_load_2addr_b64 v[12:15], v145 offset0:169 offset1:232
	ds_load_2addr_b64 v[8:11], v146 offset0:177 offset1:240
	ds_load_2addr_b64 v[4:7], v156 offset0:39 offset1:102
	s_waitcnt lgkmcnt(0)
	s_barrier
	buffer_gl0_inv
	ds_store_2addr_b64 v172, v[88:89], v[126:127] offset1:9
	ds_store_b64 v172, v[50:51] offset:144
	ds_store_2addr_b64 v230, v[52:53], v[128:129] offset1:9
	ds_store_b64 v230, v[58:59] offset:144
	;; [unrolled: 2-line block ×9, first 2 shown]
	v_sub_nc_u16 v38, v131, v226
	v_mul_lo_u16 v39, v173, 27
	v_sub_nc_u16 v40, v132, v227
	v_lshrrev_b32_e32 v36, 16, v224
	v_sub_nc_u16 v41, v133, v228
	v_lshrrev_b16 v38, 1, v38
	v_sub_nc_u16 v39, v203, v39
	v_and_b32_e32 v177, 0xff, v229
	v_sub_nc_u16 v43, v134, v36
	s_waitcnt lgkmcnt(0)
	v_add_nc_u16 v38, v38, v226
	v_and_b32_e32 v178, 0xff, v39
	v_lshrrev_b16 v39, 1, v40
	v_lshrrev_b16 v40, 1, v41
	s_barrier
	v_lshrrev_b16 v179, 4, v38
	buffer_gl0_inv
	v_add_nc_u16 v39, v39, v227
	global_load_b128 v[84:87], v234, s[4:5] offset:384
	v_lshrrev_b16 v41, 1, v43
	v_mul_lo_u16 v43, v179, 27
	v_add_nc_u16 v40, v40, v228
	v_lshrrev_b16 v180, 4, v39
	s_clause 0x1
	global_load_b128 v[72:75], v236, s[4:5] offset:384
	global_load_b128 v[92:95], v236, s[4:5] offset:400
	v_lshlrev_b32_e32 v42, 5, v177
	v_sub_nc_u16 v39, v131, v43
	v_lshrrev_b16 v127, 4, v40
	v_mul_lo_u16 v40, v180, 27
	v_lshrrev_b32_e32 v37, 16, v225
	global_load_b128 v[76:79], v42, s[4:5] offset:400
	v_and_b32_e32 v181, 0xffff, v39
	v_lshlrev_b32_e32 v38, 5, v178
	v_sub_nc_u16 v39, v132, v40
	global_load_b128 v[96:99], v42, s[4:5] offset:384
	v_sub_nc_u16 v44, v130, v37
	s_clause 0x1
	global_load_b128 v[88:91], v234, s[4:5] offset:400
	global_load_b128 v[80:83], v38, s[4:5] offset:384
	v_and_b32_e32 v182, 0xffff, v39
	v_add_nc_u16 v36, v41, v36
	v_lshlrev_b32_e32 v45, 5, v181
	v_dual_mov_b32 v188, 0 :: v_dual_lshlrev_b32 v187, 1, v202
	s_delay_alu instid0(VALU_DEP_4) | instskip(NEXT) | instid1(VALU_DEP_4)
	v_lshlrev_b32_e32 v49, 5, v182
	v_lshrrev_b16 v128, 4, v36
	v_mul_lo_u16 v36, v127, 27
	v_subrev_nc_u32_e32 v126, 18, v202
	v_lshlrev_b64 v[183:184], 4, v[187:188]
	global_load_b128 v[52:55], v49, s[4:5] offset:384
	v_lshrrev_b16 v42, 1, v44
	v_mul_lo_u16 v44, v128, 27
	v_sub_nc_u16 v46, v133, v36
	v_cndmask_b32_e64 v126, v126, v138, s0
	v_mul_u32_u24_e32 v236, 0x6523, v161
	v_add_nc_u16 v37, v42, v37
	v_sub_nc_u16 v50, v134, v44
	global_load_b128 v[40:43], v45, s[4:5] offset:400
	v_and_b32_e32 v172, 0xffff, v46
	v_lshrrev_b16 v161, 14, v157
	v_lshrrev_b16 v129, 4, v37
	v_and_b32_e32 v175, 0xffff, v50
	global_load_b128 v[36:39], v38, s[4:5] offset:400
	v_lshlrev_b32_e32 v60, 5, v172
	v_lshrrev_b16 v157, 14, v158
	v_mul_lo_u16 v48, v129, 27
	v_lshlrev_b32_e32 v100, 5, v175
	v_lshrrev_b32_e32 v158, 21, v160
	v_lshrrev_b32_e32 v160, 21, v162
	v_add_co_u32 v162, s0, s4, v183
	v_sub_nc_u16 v56, v130, v48
	s_clause 0x1
	global_load_b128 v[48:51], v49, s[4:5] offset:400
	global_load_b128 v[44:47], v45, s[4:5] offset:384
	v_lshrrev_b32_e32 v189, 21, v159
	v_lshrrev_b32_e32 v159, 21, v163
	v_and_b32_e32 v176, 0xffff, v56
	s_clause 0x1
	global_load_b128 v[56:59], v60, s[4:5] offset:400
	global_load_b128 v[60:63], v60, s[4:5] offset:384
	v_add_co_ci_u32_e64 v163, s0, s5, v184, s0
	v_lshlrev_b32_e32 v104, 5, v176
	s_clause 0x3
	global_load_b128 v[64:67], v100, s[4:5] offset:384
	global_load_b128 v[68:71], v104, s[4:5] offset:384
	;; [unrolled: 1-line block ×4, first 2 shown]
	ds_load_2addr_b64 v[183:186], v143 offset0:55 offset1:118
	v_lshlrev_b32_e32 v187, 1, v126
	v_and_b32_e32 v190, 0xffff, v168
	v_and_b32_e32 v191, 0xffff, v169
	v_mul_lo_u16 v192, 0x51, v189
	v_and_b32_e32 v173, 0xffff, v173
	v_lshlrev_b64 v[168:169], 4, v[187:188]
	v_mul_u32_u24_e32 v196, 0x288, v190
	ds_load_2addr_b64 v[187:190], v144 offset0:173 offset1:236
	v_mul_lo_u16 v193, 0x51, v158
	v_mul_lo_u16 v194, 0x51, v159
	;; [unrolled: 1-line block ×3, first 2 shown]
	v_mul_u32_u24_e32 v197, 0x288, v174
	v_mul_u32_u24_e32 v198, 0x288, v173
	v_sub_nc_u16 v237, v131, v192
	v_sub_nc_u16 v238, v132, v193
	v_sub_nc_u16 v239, v133, v194
	v_sub_nc_u16 v240, v134, v195
	ds_load_2addr_b64 v[131:134], v143 offset0:181 offset1:244
	v_add_co_u32 v204, s0, s4, v168
	s_delay_alu instid0(VALU_DEP_1)
	v_add_co_ci_u32_e64 v205, s0, s5, v169, s0
	v_lshlrev_b32_e32 v192, 3, v170
	v_lshlrev_b32_e32 v193, 3, v171
	ds_load_2addr_b64 v[168:171], v144 offset0:47 offset1:110
	v_mul_u32_u24_e32 v191, 0x288, v191
	v_lshlrev_b32_e32 v177, 3, v177
	v_lshlrev_b32_e32 v195, 3, v178
	v_and_b32_e32 v178, 0xffff, v179
	v_add3_u32 v241, 0, v196, v192
	v_add3_u32 v242, 0, v197, v193
	;; [unrolled: 1-line block ×3, first 2 shown]
	v_and_b32_e32 v191, 0xffff, v180
	v_mul_u32_u24_e32 v196, 0x288, v178
	v_lshlrev_b32_e32 v214, 3, v181
	v_lshlrev_b32_e32 v215, 3, v182
	v_add3_u32 v244, 0, v198, v195
	v_mul_u32_u24_e32 v197, 0x288, v191
	ds_load_2addr_b64 v[191:194], v146 offset0:51 offset1:114
	v_add3_u32 v245, 0, v196, v214
	ds_load_2addr_b64 v[177:180], v145 offset0:43 offset1:106
	v_mul_lo_u16 v216, 0x51, v157
	v_add3_u32 v246, 0, v197, v215
	ds_load_2addr_b64 v[195:198], v145 offset0:169 offset1:232
	v_and_b32_e32 v129, 0xffff, v129
	v_mul_lo_u16 v201, 0x51, v161
	v_and_b32_e32 v237, 0xffff, v237
	v_and_b32_e32 v238, 0xffff, v238
	;; [unrolled: 1-line block ×3, first 2 shown]
	v_mul_u32_u24_e32 v129, 0x288, v129
	v_sub_nc_u16 v201, v139, v201
	v_and_b32_e32 v240, 0xffff, v240
	v_cmp_lt_u32_e64 s0, 17, v202
	s_waitcnt vmcnt(17) lgkmcnt(6)
	v_mul_f64 v[173:174], v[183:184], v[86:87]
	v_mul_f64 v[86:87], v[32:33], v[86:87]
	s_waitcnt vmcnt(16)
	v_mul_f64 v[199:200], v[185:186], v[74:75]
	s_waitcnt vmcnt(15) lgkmcnt(5)
	v_mul_f64 v[206:207], v[187:188], v[94:95]
	v_mul_f64 v[94:95], v[28:29], v[94:95]
	v_mul_f64 v[74:75], v[34:35], v[74:75]
	s_waitcnt vmcnt(14)
	v_mul_f64 v[208:209], v[189:190], v[78:79]
	v_mul_f64 v[78:79], v[30:31], v[78:79]
	s_waitcnt vmcnt(13) lgkmcnt(4)
	v_mul_f64 v[210:211], v[131:132], v[98:99]
	v_mul_f64 v[98:99], v[24:25], v[98:99]
	s_waitcnt vmcnt(12) lgkmcnt(3)
	v_mul_f64 v[214:215], v[170:171], v[90:91]
	s_waitcnt vmcnt(11)
	v_mul_f64 v[212:213], v[133:134], v[82:83]
	v_mul_f64 v[181:182], v[26:27], v[82:83]
	;; [unrolled: 1-line block ×3, first 2 shown]
	v_fma_f64 v[173:174], v[32:33], v[84:85], -v[173:174]
	v_fma_f64 v[86:87], v[183:184], v[84:85], v[86:87]
	ds_load_2addr_b64 v[82:85], v146 offset0:177 offset1:240
	v_fma_f64 v[183:184], v[34:35], v[72:73], -v[199:200]
	ds_load_2addr_b64 v[32:35], v156 offset0:39 offset1:102
	v_fma_f64 v[28:29], v[28:29], v[92:93], -v[206:207]
	v_fma_f64 v[92:93], v[187:188], v[92:93], v[94:95]
	s_waitcnt vmcnt(10) lgkmcnt(4)
	v_mul_f64 v[187:188], v[193:194], v[54:55]
	v_fma_f64 v[72:73], v[185:186], v[72:73], v[74:75]
	s_waitcnt vmcnt(9) lgkmcnt(3)
	v_mul_f64 v[185:186], v[179:180], v[42:43]
	v_fma_f64 v[30:31], v[30:31], v[76:77], -v[208:209]
	v_fma_f64 v[76:77], v[189:190], v[76:77], v[78:79]
	s_waitcnt vmcnt(8)
	v_mul_f64 v[74:75], v[177:178], v[38:39]
	s_waitcnt vmcnt(7) lgkmcnt(2)
	v_mul_f64 v[78:79], v[195:196], v[50:51]
	s_waitcnt vmcnt(6)
	v_mul_f64 v[94:95], v[191:192], v[46:47]
	v_mul_f64 v[38:39], v[20:21], v[38:39]
	;; [unrolled: 1-line block ×6, first 2 shown]
	s_waitcnt vmcnt(5)
	v_mul_f64 v[189:190], v[197:198], v[58:59]
	v_mul_f64 v[58:59], v[14:15], v[58:59]
	v_fma_f64 v[24:25], v[24:25], v[96:97], -v[210:211]
	v_fma_f64 v[96:97], v[131:132], v[96:97], v[98:99]
	s_waitcnt vmcnt(4) lgkmcnt(1)
	v_mul_f64 v[98:99], v[82:83], v[62:63]
	v_mul_f64 v[62:63], v[8:9], v[62:63]
	v_fma_f64 v[26:27], v[26:27], v[80:81], -v[212:213]
	s_waitcnt vmcnt(3)
	v_mul_f64 v[131:132], v[84:85], v[66:67]
	v_mul_f64 v[66:67], v[10:11], v[66:67]
	v_fma_f64 v[80:81], v[133:134], v[80:81], v[181:182]
	s_waitcnt vmcnt(1) lgkmcnt(0)
	v_mul_f64 v[181:182], v[32:33], v[102:103]
	v_mul_f64 v[102:103], v[4:5], v[102:103]
	;; [unrolled: 1-line block ×4, first 2 shown]
	v_fma_f64 v[199:200], v[2:3], v[88:89], -v[214:215]
	v_fma_f64 v[88:89], v[170:171], v[88:89], v[90:91]
	s_waitcnt vmcnt(0)
	v_mul_f64 v[90:91], v[34:35], v[106:107]
	v_mul_f64 v[106:107], v[6:7], v[106:107]
	v_and_b32_e32 v3, 0xffff, v127
	v_lshlrev_b32_e32 v171, 3, v172
	v_and_b32_e32 v127, 0xffff, v128
	v_sub_nc_u16 v128, v203, v216
	v_lshlrev_b32_e32 v172, 3, v175
	v_mul_u32_u24_e32 v170, 0x288, v3
	v_lshlrev_b32_e32 v175, 3, v176
	v_fma_f64 v[18:19], v[18:19], v[52:53], -v[187:188]
	v_add_f64 v[208:209], v[72:73], v[92:93]
	v_fma_f64 v[22:23], v[22:23], v[40:41], -v[185:186]
	v_add3_u32 v247, 0, v170, v171
	v_mul_u32_u24_e32 v127, 0x288, v127
	v_fma_f64 v[20:21], v[20:21], v[36:37], -v[74:75]
	v_fma_f64 v[12:13], v[12:13], v[48:49], -v[78:79]
	;; [unrolled: 1-line block ×3, first 2 shown]
	v_fma_f64 v[36:37], v[177:178], v[36:37], v[38:39]
	v_fma_f64 v[38:39], v[179:180], v[40:41], v[42:43]
	;; [unrolled: 1-line block ×5, first 2 shown]
	v_fma_f64 v[14:15], v[14:15], v[56:57], -v[189:190]
	v_fma_f64 v[46:47], v[197:198], v[56:57], v[58:59]
	v_and_b32_e32 v3, 0xff, v128
	v_add_f64 v[210:211], v[96:97], v[76:77]
	v_fma_f64 v[8:9], v[8:9], v[60:61], -v[98:99]
	v_fma_f64 v[48:49], v[82:83], v[60:61], v[62:63]
	v_add_f64 v[98:99], v[24:25], v[30:31]
	v_fma_f64 v[10:11], v[10:11], v[64:65], -v[131:132]
	v_fma_f64 v[50:51], v[84:85], v[64:65], v[66:67]
	;; [unrolled: 3-line block ×3, first 2 shown]
	v_fma_f64 v[0:1], v[0:1], v[68:69], -v[133:134]
	v_fma_f64 v[52:53], v[168:169], v[68:69], v[70:71]
	ds_load_b64 v[54:55], v142
	ds_load_b64 v[56:57], v151
	;; [unrolled: 1-line block ×9, first 2 shown]
	v_add_f64 v[74:75], v[173:174], v[199:200]
	v_fma_f64 v[6:7], v[6:7], v[104:105], -v[90:91]
	v_fma_f64 v[34:35], v[34:35], v[104:105], v[106:107]
	v_add_f64 v[82:83], v[86:87], -v[88:89]
	v_add_f64 v[90:91], v[122:123], v[183:184]
	v_add_f64 v[100:101], v[120:121], v[24:25]
	;; [unrolled: 1-line block ×3, first 2 shown]
	v_add3_u32 v249, 0, v127, v172
	v_add3_u32 v129, 0, v129, v175
	v_add_f64 v[78:79], v[124:125], v[173:174]
	v_add_f64 v[102:103], v[96:97], -v[76:77]
	s_waitcnt lgkmcnt(8)
	v_add_f64 v[193:194], v[54:55], v[86:87]
	v_add_f64 v[86:87], v[86:87], v[88:89]
	;; [unrolled: 1-line block ×3, first 2 shown]
	v_add_f64 v[172:173], v[173:174], -v[199:200]
	v_add_f64 v[104:105], v[26:27], v[20:21]
	v_add_f64 v[170:171], v[18:19], v[12:13]
	;; [unrolled: 1-line block ×4, first 2 shown]
	v_add_f64 v[127:128], v[80:81], -v[36:37]
	v_add_f64 v[214:215], v[40:41], v[38:39]
	v_add_f64 v[168:169], v[40:41], -v[38:39]
	v_add_f64 v[216:217], v[42:43], v[44:45]
	s_waitcnt lgkmcnt(4)
	v_add_f64 v[40:41], v[62:63], v[40:41]
	v_add_f64 v[177:178], v[42:43], -v[44:45]
	v_add_f64 v[96:97], v[58:59], v[96:97]
	v_add_f64 v[80:81], v[60:61], v[80:81]
	;; [unrolled: 1-line block ×4, first 2 shown]
	v_add_f64 v[185:186], v[48:49], -v[46:47]
	s_waitcnt lgkmcnt(3)
	v_add_f64 v[42:43], v[64:65], v[42:43]
	s_waitcnt lgkmcnt(2)
	v_add_f64 v[48:49], v[66:67], v[48:49]
	v_fma_f64 v[98:99], v[98:99], -0.5, v[120:121]
	v_add_f64 v[187:188], v[10:11], v[4:5]
	v_add_f64 v[220:221], v[50:51], v[32:33]
	v_add_f64 v[94:95], v[72:73], -v[92:93]
	v_add_f64 v[133:134], v[116:117], v[16:17]
	v_add_f64 v[72:73], v[56:57], v[72:73]
	v_fma_f64 v[74:75], v[74:75], -0.5, v[124:125]
	v_add_f64 v[195:196], v[0:1], v[6:7]
	v_add_f64 v[222:223], v[52:53], v[34:35]
	v_fma_f64 v[84:85], v[84:85], -0.5, v[122:123]
	v_add_f64 v[183:184], v[183:184], -v[28:29]
	v_fma_f64 v[56:57], v[208:209], -0.5, v[56:57]
	v_add_f64 v[24:25], v[24:25], -v[30:31]
	;; [unrolled: 2-line block ×3, first 2 shown]
	v_add_f64 v[16:17], v[16:17], -v[22:23]
	v_add_f64 v[18:19], v[18:19], -v[12:13]
	v_add_f64 v[181:182], v[112:113], v[8:9]
	v_fma_f64 v[54:55], v[86:87], -0.5, v[54:55]
	v_add_f64 v[8:9], v[8:9], -v[14:15]
	v_add_f64 v[28:29], v[90:91], v[28:29]
	v_fma_f64 v[104:105], v[104:105], -0.5, v[118:119]
	v_fma_f64 v[114:115], v[170:171], -0.5, v[114:115]
	;; [unrolled: 1-line block ×4, first 2 shown]
	v_add_f64 v[189:190], v[110:111], v[10:11]
	v_fma_f64 v[62:63], v[214:215], -0.5, v[62:63]
	v_add_f64 v[191:192], v[50:51], -v[32:33]
	v_fma_f64 v[64:65], v[216:217], -0.5, v[64:65]
	v_add_f64 v[10:11], v[10:11], -v[4:5]
	s_waitcnt lgkmcnt(1)
	v_add_f64 v[50:51], v[68:69], v[50:51]
	v_add_f64 v[30:31], v[100:101], v[30:31]
	;; [unrolled: 1-line block ×3, first 2 shown]
	v_fma_f64 v[90:91], v[179:180], -0.5, v[112:113]
	v_fma_f64 v[66:67], v[218:219], -0.5, v[66:67]
	v_add_f64 v[197:198], v[52:53], -v[34:35]
	v_add_f64 v[206:207], v[108:109], v[0:1]
	v_add_f64 v[0:1], v[0:1], -v[6:7]
	s_waitcnt lgkmcnt(0)
	v_add_f64 v[52:53], v[70:71], v[52:53]
	v_fma_f64 v[100:101], v[187:188], -0.5, v[110:111]
	v_fma_f64 v[40:41], v[220:221], -0.5, v[68:69]
	v_add_f64 v[20:21], v[106:107], v[20:21]
	v_add_f64 v[78:79], v[78:79], v[199:200]
	;; [unrolled: 1-line block ×4, first 2 shown]
	v_fma_f64 v[106:107], v[195:196], -0.5, v[108:109]
	v_fma_f64 v[68:69], v[222:223], -0.5, v[70:71]
	v_add_f64 v[36:37], v[80:81], v[36:37]
	v_add_f64 v[42:43], v[42:43], v[44:45]
	;; [unrolled: 1-line block ×3, first 2 shown]
	v_fma_f64 v[46:47], v[82:83], s[6:7], v[74:75]
	v_fma_f64 v[48:49], v[82:83], s[8:9], v[74:75]
	;; [unrolled: 1-line block ×4, first 2 shown]
	v_add_f64 v[72:73], v[72:73], v[92:93]
	v_fma_f64 v[70:71], v[94:95], s[6:7], v[84:85]
	v_fma_f64 v[74:75], v[94:95], s[8:9], v[84:85]
	;; [unrolled: 1-line block ×16, first 2 shown]
	v_add_f64 v[22:23], v[133:134], v[22:23]
	v_fma_f64 v[124:125], v[16:17], s[8:9], v[62:63]
	v_fma_f64 v[62:63], v[16:17], s[6:7], v[62:63]
	v_add_f64 v[12:13], v[175:176], v[12:13]
	v_fma_f64 v[127:128], v[18:19], s[8:9], v[64:65]
	v_fma_f64 v[64:65], v[18:19], s[6:7], v[64:65]
	;; [unrolled: 3-line block ×3, first 2 shown]
	v_fma_f64 v[90:91], v[185:186], s[8:9], v[90:91]
	v_fma_f64 v[66:67], v[8:9], s[6:7], v[66:67]
	v_add_f64 v[4:5], v[189:190], v[4:5]
	v_fma_f64 v[104:105], v[191:192], s[6:7], v[100:101]
	v_add_f64 v[110:111], v[50:51], v[32:33]
	v_fma_f64 v[133:134], v[10:11], s[8:9], v[40:41]
	v_fma_f64 v[100:101], v[191:192], s[8:9], v[100:101]
	;; [unrolled: 1-line block ×3, first 2 shown]
	v_add_f64 v[6:7], v[206:207], v[6:7]
	v_fma_f64 v[108:109], v[197:198], s[6:7], v[106:107]
	v_add_f64 v[112:113], v[52:53], v[34:35]
	v_fma_f64 v[168:169], v[0:1], s[8:9], v[68:69]
	v_fma_f64 v[106:107], v[197:198], s[8:9], v[106:107]
	;; [unrolled: 1-line block ×3, first 2 shown]
	v_and_b32_e32 v2, 0xff, v201
	s_barrier
	buffer_gl0_inv
	ds_store_2addr_b64 v241, v[78:79], v[46:47] offset1:27
	ds_store_b64 v241, v[48:49] offset:432
	ds_store_2addr_b64 v242, v[28:29], v[70:71] offset1:27
	ds_store_b64 v242, v[74:75] offset:432
	;; [unrolled: 2-line block ×9, first 2 shown]
	s_waitcnt lgkmcnt(0)
	s_barrier
	buffer_gl0_inv
	ds_load_b64 v[200:201], v142
	ds_load_b64 v[220:221], v151
	;; [unrolled: 1-line block ×9, first 2 shown]
	ds_load_2addr_b64 v[4:7], v143 offset0:55 offset1:118
	ds_load_2addr_b64 v[8:11], v144 offset0:47 offset1:110
	;; [unrolled: 1-line block ×9, first 2 shown]
	s_waitcnt lgkmcnt(0)
	s_barrier
	buffer_gl0_inv
	ds_store_2addr_b64 v241, v[86:87], v[114:115] offset1:27
	ds_store_b64 v241, v[116:117] offset:432
	ds_store_2addr_b64 v242, v[72:73], v[118:119] offset1:27
	ds_store_b64 v242, v[56:57] offset:432
	;; [unrolled: 2-line block ×9, first 2 shown]
	s_waitcnt lgkmcnt(0)
	s_barrier
	buffer_gl0_inv
	s_clause 0x1
	global_load_b128 v[56:59], v[162:163], off offset:1248
	global_load_b128 v[60:63], v[204:205], off offset:1248
	v_lshlrev_b32_e32 v248, 5, v2
	v_lshlrev_b32_e32 v0, 5, v3
	;; [unrolled: 1-line block ×4, first 2 shown]
	s_clause 0x7
	global_load_b128 v[64:67], v[204:205], off offset:1264
	global_load_b128 v[68:71], v248, s[4:5] offset:1264
	global_load_b128 v[90:93], v248, s[4:5] offset:1248
	;; [unrolled: 1-line block ×7, first 2 shown]
	v_lshrrev_b32_e32 v1, 21, v236
	v_lshlrev_b32_e32 v0, 5, v239
	v_lshlrev_b32_e32 v13, 5, v240
	s_clause 0x1
	global_load_b128 v[120:123], v12, s[4:5] offset:1264
	global_load_b128 v[131:134], v0, s[4:5] offset:1264
	v_mul_lo_u16 v1, 0x51, v1
	s_clause 0x2
	global_load_b128 v[168:171], v0, s[4:5] offset:1248
	global_load_b128 v[172:175], v13, s[4:5] offset:1248
	global_load_b128 v[84:87], v[162:163], off offset:1264
	v_add_nc_u32_e32 v163, 0x1c00, v142
	v_add_nc_u32_e32 v162, 0x800, v142
	v_sub_nc_u16 v0, v130, v1
	s_delay_alu instid0(VALU_DEP_1) | instskip(NEXT) | instid1(VALU_DEP_1)
	v_and_b32_e32 v236, 0xffff, v0
	v_lshlrev_b32_e32 v0, 5, v236
	s_clause 0x2
	global_load_b128 v[127:130], v0, s[4:5] offset:1248
	global_load_b128 v[176:179], v13, s[4:5] offset:1264
	;; [unrolled: 1-line block ×3, first 2 shown]
	ds_load_2addr_b64 v[94:97], v143 offset0:55 offset1:118
	ds_load_2addr_b64 v[184:187], v144 offset0:173 offset1:236
	;; [unrolled: 1-line block ×9, first 2 shown]
	v_add_nc_u32_e32 v156, 0xc00, v142
	s_waitcnt vmcnt(17) lgkmcnt(8)
	v_mul_f64 v[0:1], v[94:95], v[58:59]
	s_waitcnt vmcnt(16)
	v_mul_f64 v[12:13], v[96:97], v[62:63]
	v_mul_f64 v[58:59], v[4:5], v[58:59]
	;; [unrolled: 1-line block ×3, first 2 shown]
	s_waitcnt vmcnt(15) lgkmcnt(7)
	v_mul_f64 v[14:15], v[184:185], v[66:67]
	s_waitcnt vmcnt(14)
	v_mul_f64 v[38:39], v[186:187], v[70:71]
	s_waitcnt vmcnt(13) lgkmcnt(6)
	v_mul_f64 v[40:41], v[188:189], v[92:93]
	s_waitcnt vmcnt(12)
	v_mul_f64 v[42:43], v[190:191], v[102:103]
	;; [unrolled: 4-line block ×4, first 2 shown]
	v_mul_f64 v[66:67], v[16:17], v[66:67]
	s_waitcnt vmcnt(7) lgkmcnt(3)
	v_mul_f64 v[76:77], v[204:205], v[122:123]
	s_waitcnt vmcnt(6)
	v_mul_f64 v[78:79], v[206:207], v[133:134]
	s_waitcnt vmcnt(5) lgkmcnt(2)
	v_mul_f64 v[80:81], v[208:209], v[170:171]
	s_waitcnt vmcnt(4)
	v_mul_f64 v[82:83], v[210:211], v[174:175]
	s_waitcnt vmcnt(3) lgkmcnt(1)
	v_mul_f64 v[88:89], v[214:215], v[86:87]
	v_mul_f64 v[70:71], v[18:19], v[70:71]
	s_waitcnt vmcnt(1) lgkmcnt(0)
	v_mul_f64 v[98:99], v[216:217], v[178:179]
	v_fma_f64 v[36:37], v[4:5], v[56:57], -v[0:1]
	v_mul_f64 v[0:1], v[20:21], v[92:93]
	v_mul_f64 v[92:93], v[212:213], v[129:130]
	;; [unrolled: 1-line block ×3, first 2 shown]
	s_waitcnt vmcnt(0)
	v_mul_f64 v[102:103], v[218:219], v[182:183]
	v_fma_f64 v[12:13], v[6:7], v[60:61], -v[12:13]
	v_fma_f64 v[16:17], v[16:17], v[64:65], -v[14:15]
	;; [unrolled: 1-line block ×3, first 2 shown]
	v_mul_f64 v[6:7], v[24:25], v[106:107]
	v_fma_f64 v[20:21], v[20:21], v[90:91], -v[40:41]
	v_fma_f64 v[18:19], v[22:23], v[100:101], -v[42:43]
	;; [unrolled: 1-line block ×4, first 2 shown]
	v_mul_f64 v[24:25], v[26:27], v[110:111]
	v_mul_f64 v[26:27], v[28:29], v[114:115]
	v_fma_f64 v[42:43], v[28:29], v[112:113], -v[72:73]
	v_fma_f64 v[40:41], v[30:31], v[116:117], -v[74:75]
	v_mul_f64 v[28:29], v[30:31], v[118:119]
	v_mul_f64 v[30:31], v[32:33], v[122:123]
	v_fma_f64 v[46:47], v[32:33], v[120:121], -v[76:77]
	v_fma_f64 v[44:45], v[34:35], v[131:132], -v[78:79]
	;; [unrolled: 4-line block ×3, first 2 shown]
	v_mul_f64 v[48:49], v[50:51], v[174:175]
	v_mul_f64 v[50:51], v[10:11], v[86:87]
	v_fma_f64 v[80:81], v[10:11], v[84:85], -v[88:89]
	v_mul_f64 v[10:11], v[52:53], v[178:179]
	v_fma_f64 v[94:95], v[94:95], v[56:57], v[58:59]
	v_fma_f64 v[96:97], v[96:97], v[60:61], v[62:63]
	;; [unrolled: 1-line block ×4, first 2 shown]
	v_mul_u32_u24_e32 v133, 0x798, v160
	v_lshlrev_b32_e32 v160, 3, v3
	v_fma_f64 v[78:79], v[52:53], v[176:177], -v[98:99]
	v_mul_f64 v[52:53], v[54:55], v[182:183]
	v_fma_f64 v[98:99], v[188:189], v[90:91], v[0:1]
	v_fma_f64 v[76:77], v[8:9], v[127:128], -v[92:93]
	v_mul_f64 v[8:9], v[8:9], v[129:130]
	v_fma_f64 v[82:83], v[54:55], v[180:181], -v[102:103]
	v_fma_f64 v[100:101], v[190:191], v[100:101], v[4:5]
	v_add_f64 v[4:5], v[12:13], v[16:17]
	v_and_b32_e32 v130, 0xffff, v161
	v_fma_f64 v[90:91], v[192:193], v[104:105], v[6:7]
	v_add_f64 v[6:7], v[20:21], v[14:15]
	v_lshlrev_b32_e32 v161, 3, v238
	s_delay_alu instid0(VALU_DEP_4)
	v_mul_u32_u24_e32 v130, 0x798, v130
	v_fma_f64 v[92:93], v[194:195], v[108:109], v[24:25]
	v_add_f64 v[24:25], v[18:19], v[38:39]
	v_fma_f64 v[102:103], v[196:197], v[112:113], v[26:27]
	v_add_f64 v[26:27], v[42:43], v[22:23]
	v_fma_f64 v[104:105], v[198:199], v[116:117], v[28:29]
	v_fma_f64 v[106:107], v[204:205], v[120:121], v[30:31]
	v_add_f64 v[28:29], v[40:41], v[46:47]
	v_add_f64 v[54:55], v[226:227], v[42:43]
	v_fma_f64 v[108:109], v[206:207], v[131:132], v[32:33]
	v_fma_f64 v[110:111], v[208:209], v[168:169], v[34:35]
	v_cndmask_b32_e64 v32, 0, 0x798, s0
	v_lshlrev_b32_e32 v33, 3, v126
	v_fma_f64 v[116:117], v[210:211], v[172:173], v[48:49]
	v_fma_f64 v[84:85], v[214:215], v[84:85], v[50:51]
	v_add_f64 v[0:1], v[36:37], v[80:81]
	v_fma_f64 v[112:113], v[216:217], v[176:177], v[10:11]
	v_add3_u32 v177, 0, v32, v33
	v_add_f64 v[32:33], v[200:201], v[36:37]
	v_add_f64 v[60:61], v[232:233], v[72:73]
	;; [unrolled: 1-line block ×3, first 2 shown]
	v_add_f64 v[66:67], v[96:97], -v[86:87]
	v_add_f64 v[50:51], v[222:223], v[20:21]
	v_add_f64 v[10:11], v[72:73], v[78:79]
	v_fma_f64 v[114:115], v[218:219], v[180:181], v[52:53]
	v_add_f64 v[52:53], v[224:225], v[18:19]
	v_add_f64 v[56:57], v[228:229], v[40:41]
	v_add_f64 v[68:69], v[98:99], -v[88:89]
	v_add_f64 v[62:63], v[234:235], v[76:77]
	v_fma_f64 v[118:119], v[212:213], v[127:128], v[8:9]
	v_add_f64 v[8:9], v[74:75], v[44:45]
	v_add_f64 v[30:31], v[76:77], v[82:83]
	v_fma_f64 v[4:5], v[4:5], -0.5, v[220:221]
	v_add_f64 v[58:59], v[230:231], v[74:75]
	v_add_f64 v[70:71], v[100:101], -v[90:91]
	v_fma_f64 v[6:7], v[6:7], -0.5, v[222:223]
	v_mul_u32_u24_e32 v132, 0x798, v159
	v_lshlrev_b32_e32 v159, 3, v2
	v_mul_u32_u24_e32 v131, 0x798, v158
	v_lshlrev_b32_e32 v168, 3, v239
	v_fma_f64 v[24:25], v[24:25], -0.5, v[224:225]
	v_add_f64 v[120:121], v[102:103], -v[92:93]
	v_fma_f64 v[26:27], v[26:27], -0.5, v[226:227]
	v_lshlrev_b32_e32 v169, 3, v240
	v_add_f64 v[122:123], v[104:105], -v[106:107]
	v_fma_f64 v[28:29], v[28:29], -0.5, v[228:229]
	v_add_f64 v[54:55], v[54:55], v[22:23]
	v_lshl_add_u32 v158, v236, 3, 0
	v_add_f64 v[124:125], v[110:111], -v[108:109]
	v_add3_u32 v183, 0, v130, v159
	v_add_nc_u32_e32 v176, 0x2400, v142
	v_add3_u32 v178, 0, v131, v161
	v_add_f64 v[34:35], v[94:95], -v[84:85]
	v_fma_f64 v[64:65], v[0:1], -0.5, v[200:201]
	v_add_f64 v[126:127], v[116:117], -v[112:113]
	v_and_b32_e32 v0, 0xffff, v157
	v_add_f64 v[32:33], v[32:33], v[80:81]
	v_add_f64 v[196:197], v[60:61], v[78:79]
	;; [unrolled: 1-line block ×3, first 2 shown]
	v_lshl_add_u32 v157, v237, 3, 0
	v_mul_u32_u24_e32 v134, 0x798, v0
	v_fma_f64 v[10:11], v[10:11], -0.5, v[232:233]
	v_add_f64 v[50:51], v[50:51], v[14:15]
	v_add_f64 v[52:53], v[52:53], v[38:39]
	;; [unrolled: 1-line block ×3, first 2 shown]
	v_add3_u32 v179, 0, v134, v160
	v_add_f64 v[0:1], v[62:63], v[82:83]
	v_add_f64 v[128:129], v[118:119], -v[114:115]
	v_fma_f64 v[8:9], v[8:9], -0.5, v[230:231]
	v_fma_f64 v[30:31], v[30:31], -0.5, v[234:235]
	v_fma_f64 v[62:63], v[66:67], s[6:7], v[4:5]
	v_add_f64 v[58:59], v[58:59], v[44:45]
	v_add_nc_u32_e32 v182, 0x1400, v157
	v_add3_u32 v160, 0, v132, v168
	v_add3_u32 v159, 0, v133, v169
	v_add_nc_u32_e32 v161, 0x2c00, v158
	v_cmp_gt_u32_e64 s0, 54, v202
	v_fma_f64 v[170:171], v[70:71], s[6:7], v[24:25]
	v_fma_f64 v[24:25], v[70:71], s[8:9], v[24:25]
	;; [unrolled: 1-line block ×13, first 2 shown]
	v_sub_nc_u32_e32 v10, 0, v150
	v_sub_nc_u32_e32 v150, 0, v148
	;; [unrolled: 1-line block ×3, first 2 shown]
	v_fma_f64 v[174:175], v[124:125], s[6:7], v[8:9]
	v_fma_f64 v[180:181], v[124:125], s[8:9], v[8:9]
	;; [unrolled: 1-line block ×4, first 2 shown]
	ds_load_b64 v[128:129], v136
	ds_load_b64 v[126:127], v137
	;; [unrolled: 1-line block ×9, first 2 shown]
	s_waitcnt lgkmcnt(0)
	s_barrier
	buffer_gl0_inv
	ds_store_2addr_b64 v142, v[32:33], v[60:61] offset1:81
	ds_store_b64 v142, v[34:35] offset:1296
	ds_store_2addr_b64 v177, v[48:49], v[62:63] offset1:81
	ds_store_b64 v177, v[64:65] offset:1296
	;; [unrolled: 2-line block ×4, first 2 shown]
	ds_store_2addr_b64 v182, v[54:55], v[70:71] offset0:89 offset1:170
	ds_store_b64 v157, v[26:27] offset:7128
	ds_store_2addr_b64 v178, v[56:57], v[172:173] offset1:81
	ds_store_b64 v178, v[28:29] offset:1296
	ds_store_2addr_b64 v160, v[58:59], v[174:175] offset1:81
	;; [unrolled: 2-line block ×3, first 2 shown]
	ds_store_b64 v159, v[6:7] offset:1296
	ds_store_2addr_b64 v161, v[0:1], v[2:3] offset0:50 offset1:131
	ds_store_b64 v158, v[8:9] offset:12960
	s_waitcnt lgkmcnt(0)
	s_barrier
	buffer_gl0_inv
	ds_load_2addr_b64 v[252:255], v142 offset1:243
	ds_load_b64 v[172:173], v152
	ds_load_b64 v[168:169], v151
	ds_load_b64 v[180:181], v142 offset:12672
	ds_load_2addr_b64 v[52:55], v156 offset0:102 offset1:165
	ds_load_2addr_b64 v[68:71], v143 offset0:100 offset1:217
	;; [unrolled: 1-line block ×8, first 2 shown]
	v_add_nc_u32_e32 v147, v147, v10
	s_and_saveexec_b32 s1, s0
	s_cbranch_execz .LBB0_15
; %bb.14:
	v_add_nc_u32_e32 v0, 0xd80, v142
	v_add_nc_u32_e32 v1, 0x1c80, v142
	;; [unrolled: 1-line block ×3, first 2 shown]
	ds_load_b64 v[196:197], v147
	ds_load_2addr_b64 v[4:7], v0 offset1:243
	ds_load_2addr_b64 v[0:3], v1 offset0:6 offset1:249
	ds_load_2addr_b64 v[8:11], v8 offset0:12 offset1:255
.LBB0_15:
	s_or_b32 exec_lo, exec_lo, s1
	v_add_f64 v[151:152], v[94:95], v[84:85]
	v_add_f64 v[153:154], v[96:97], v[86:87]
	;; [unrolled: 1-line block ×10, first 2 shown]
	v_add_f64 v[36:37], v[36:37], -v[80:81]
	v_add_f64 v[80:81], v[132:133], v[96:97]
	v_add_f64 v[96:97], v[134:135], v[98:99]
	;; [unrolled: 1-line block ×8, first 2 shown]
	v_add_f64 v[16:17], v[12:13], -v[16:17]
	v_add_f64 v[14:15], v[20:21], -v[14:15]
	;; [unrolled: 1-line block ×8, first 2 shown]
	v_add_nc_u32_e32 v24, v140, v150
	v_add_nc_u32_e32 v25, v141, v148
	s_waitcnt lgkmcnt(0)
	s_barrier
	buffer_gl0_inv
	v_fma_f64 v[118:119], v[151:152], -0.5, v[136:137]
	v_fma_f64 v[132:133], v[153:154], -0.5, v[132:133]
	;; [unrolled: 1-line block ×9, first 2 shown]
	v_add_f64 v[84:85], v[94:95], v[84:85]
	v_add_f64 v[80:81], v[80:81], v[86:87]
	;; [unrolled: 1-line block ×9, first 2 shown]
	v_fma_f64 v[96:97], v[36:37], s[8:9], v[118:119]
	v_fma_f64 v[36:37], v[36:37], s[6:7], v[118:119]
	;; [unrolled: 1-line block ×18, first 2 shown]
	ds_store_2addr_b64 v142, v[84:85], v[96:97] offset1:81
	ds_store_b64 v142, v[36:37] offset:1296
	ds_store_2addr_b64 v177, v[80:81], v[98:99] offset1:81
	ds_store_b64 v177, v[100:101] offset:1296
	;; [unrolled: 2-line block ×4, first 2 shown]
	ds_store_2addr_b64 v182, v[90:91], v[108:109] offset0:89 offset1:170
	ds_store_b64 v157, v[22:23] offset:7128
	ds_store_2addr_b64 v178, v[92:93], v[42:43] offset1:81
	ds_store_b64 v178, v[40:41] offset:1296
	ds_store_2addr_b64 v160, v[94:95], v[46:47] offset1:81
	ds_store_b64 v160, v[44:45] offset:1296
	ds_store_2addr_b64 v159, v[26:27], v[16:17] offset1:81
	ds_store_b64 v159, v[18:19] offset:1296
	ds_store_2addr_b64 v161, v[110:111], v[112:113] offset0:50 offset1:131
	ds_store_b64 v158, v[20:21] offset:12960
	s_waitcnt lgkmcnt(0)
	s_barrier
	buffer_gl0_inv
	ds_load_2addr_b64 v[96:99], v142 offset1:243
	ds_load_2addr_b64 v[76:79], v156 offset0:102 offset1:165
	ds_load_2addr_b64 v[92:95], v143 offset0:100 offset1:217
	;; [unrolled: 1-line block ×8, first 2 shown]
	ds_load_b64 v[14:15], v25
	ds_load_b64 v[24:25], v24
	ds_load_b64 v[182:183], v142 offset:12672
	s_and_saveexec_b32 s1, s0
	s_cbranch_execz .LBB0_17
; %bb.16:
	v_add_nc_u32_e32 v12, 0xd80, v142
	v_add_nc_u32_e32 v13, 0x1c80, v142
	;; [unrolled: 1-line block ×3, first 2 shown]
	ds_load_b64 v[26:27], v147
	ds_load_2addr_b64 v[16:19], v12 offset1:243
	ds_load_2addr_b64 v[110:113], v13 offset0:6 offset1:249
	ds_load_2addr_b64 v[20:23], v20 offset0:12 offset1:255
.LBB0_17:
	s_or_b32 exec_lo, exec_lo, s1
	s_and_saveexec_b32 s1, vcc_lo
	s_cbranch_execz .LBB0_20
; %bb.18:
	s_waitcnt lgkmcnt(11)
	v_dual_mov_b32 v36, v96 :: v_dual_mov_b32 v39, v99
	v_dual_mov_b32 v38, v98 :: v_dual_mov_b32 v185, 0
	v_mul_i32_i24_e32 v184, 6, v139
	s_waitcnt lgkmcnt(1)
	scratch_store_b64 off, v[24:25], off offset:32 ; 8-byte Folded Spill
	v_mul_u32_u24_e32 v24, 6, v202
	v_mov_b32_e32 v37, v97
	v_mul_lo_u32 v25, s2, v167
	v_lshlrev_b64 v[101:102], 4, v[184:185]
	v_mul_i32_i24_e32 v184, 6, v138
	v_lshlrev_b32_e32 v100, 4, v24
	s_clause 0x1
	global_load_b128 v[96:99], v100, s[4:5] offset:3872
	global_load_b128 v[152:155], v100, s[4:5] offset:3920
	v_add_co_u32 v101, vcc_lo, s4, v101
	v_add_co_ci_u32_e32 v102, vcc_lo, s5, v102, vcc_lo
	v_lshlrev_b64 v[103:104], 4, v[184:185]
	s_clause 0x4
	global_load_b128 v[148:151], v100, s[4:5] offset:3840
	global_load_b128 v[144:147], v100, s[4:5] offset:3904
	;; [unrolled: 1-line block ×4, first 2 shown]
	global_load_b128 v[116:119], v[101:102], off offset:3856
	s_clause 0x1
	scratch_store_b64 off, v[26:27], off
	scratch_store_b128 off, v[110:113], off offset:40
	global_load_b128 v[108:111], v[101:102], off offset:3840
	v_add_co_u32 v105, vcc_lo, s4, v103
	v_add_co_ci_u32_e32 v106, vcc_lo, s5, v104, vcc_lo
	s_clause 0x9
	global_load_b128 v[112:115], v[101:102], off offset:3920
	global_load_b128 v[132:135], v[101:102], off offset:3904
	global_load_b128 v[128:131], v[105:106], off offset:3840
	global_load_b128 v[140:143], v[105:106], off offset:3920
	global_load_b128 v[136:139], v[105:106], off offset:3904
	global_load_b128 v[207:210], v[105:106], off offset:3856
	global_load_b128 v[156:159], v[101:102], off offset:3888
	global_load_b128 v[160:163], v[101:102], off offset:3872
	global_load_b128 v[100:103], v[105:106], off offset:3888
	global_load_b128 v[104:107], v[105:106], off offset:3872
	v_mul_lo_u32 v24, s3, v166
	v_mad_u64_u32 v[186:187], null, s2, v166, 0
	v_mul_hi_u32 v26, 0x86d90545, v202
	s_clause 0x1
	scratch_store_b64 off, v[168:169], off offset:56
	scratch_store_b64 off, v[172:173], off offset:64
	v_add_nc_u32_e32 v168, 0x7e, v202
	v_lshlrev_b64 v[164:165], 4, v[164:165]
	s_clause 0x1
	scratch_store_b64 off, v[196:197], off offset:8
	scratch_store_b128 off, v[8:11], off offset:16
	v_add3_u32 v187, v187, v25, v24
	v_lshrrev_b32_e32 v24, 7, v26
	v_mul_hi_u32 v167, 0x86d90545, v168
	v_mov_b32_e32 v10, v36
	v_mov_b32_e32 v12, v38
	v_dual_mov_b32 v8, v14 :: v_dual_mov_b32 v9, v15
	v_mul_lo_u32 v24, 0xf3, v24
	s_mov_b32 s22, 0xe976ee23
	s_mov_b32 s26, 0x37e14327
	v_lshrrev_b32_e32 v26, 7, v167
	s_mov_b32 s24, 0x36b3c0b5
	s_mov_b32 s18, 0x429ad128
	;; [unrolled: 1-line block ×4, first 2 shown]
	v_sub_nc_u32_e32 v24, v202, v24
	v_mul_lo_u32 v170, 0xf3, v26
	s_mov_b32 s25, 0x3fac98ee
	s_mov_b32 s19, 0x3febfeb5
	;; [unrolled: 1-line block ×3, first 2 shown]
	v_add_nc_u32_e32 v173, 0x2d9, v24
	v_add_nc_u32_e32 v176, 0x5b2, v24
	s_mov_b32 s8, 0xaaaaaaaa
	s_mov_b32 s14, 0x5476071b
	;; [unrolled: 1-line block ×3, first 2 shown]
	v_mad_u64_u32 v[190:191], null, s12, v173, 0
	v_add_nc_u32_e32 v27, 63, v202
	v_mad_u64_u32 v[196:197], null, s12, v176, 0
	s_mov_b32 s9, 0xbff2aaaa
	s_mov_b32 s17, 0xbfd5d0dc
	;; [unrolled: 1-line block ×3, first 2 shown]
	s_delay_alu instid0(VALU_DEP_3) | instskip(SKIP_2) | instid1(VALU_DEP_3)
	v_mov_b32_e32 v184, v191
	v_mul_hi_u32 v166, 0x86d90545, v27
	s_mov_b32 s21, 0x3fe77f67
	v_mov_b32_e32 v191, v197
	s_mov_b32 s16, s6
	s_mov_b32 s20, s14
	;; [unrolled: 1-line block ×4, first 2 shown]
	v_mov_b32_e32 v13, v39
	v_lshrrev_b32_e32 v25, 7, v166
	v_lshlrev_b64 v[166:167], 4, v[186:187]
	v_dual_mov_b32 v11, v37 :: v_dual_mov_b32 v36, v252
	v_mov_b32_e32 v37, v253
	s_delay_alu instid0(VALU_DEP_4) | instskip(SKIP_2) | instid1(VALU_DEP_1)
	v_mul_lo_u32 v169, 0xf3, v25
	v_mov_b32_e32 v38, v254
	v_add_co_u32 v166, s1, s10, v166
	v_add_co_ci_u32_e64 v167, s1, s11, v167, s1
	v_mov_b32_e32 v39, v255
	s_delay_alu instid0(VALU_DEP_3) | instskip(NEXT) | instid1(VALU_DEP_1)
	v_add_co_u32 v204, s1, v166, v164
	v_add_co_ci_u32_e64 v205, s1, v167, v165, s1
	v_sub_nc_u32_e32 v166, v27, v169
	v_sub_nc_u32_e32 v167, v168, v170
	v_mad_u64_u32 v[164:165], null, s12, v24, 0
	s_delay_alu instid0(VALU_DEP_2) | instskip(SKIP_1) | instid1(VALU_DEP_3)
	v_mad_u64_u32 v[198:199], null, 0x6a5, v25, v[166:167]
	v_mad_u64_u32 v[199:200], null, 0x6a5, v26, v[167:168]
	;; [unrolled: 1-line block ×3, first 2 shown]
	s_delay_alu instid0(VALU_DEP_3) | instskip(NEXT) | instid1(VALU_DEP_3)
	v_mad_u64_u32 v[200:201], null, s12, v198, 0
	v_mad_u64_u32 v[211:212], null, s12, v199, 0
	v_add_nc_u32_e32 v26, 0x2d9, v198
	v_add_nc_u32_e32 v171, 0xf3, v24
	s_delay_alu instid0(VALU_DEP_2) | instskip(SKIP_1) | instid1(VALU_DEP_3)
	v_mad_u64_u32 v[223:224], null, s12, v26, 0
	v_add_nc_u32_e32 v25, 0x1e6, v198
	v_mad_u64_u32 v[186:187], null, s12, v171, 0
	s_delay_alu instid0(VALU_DEP_2) | instskip(SKIP_1) | instid1(VALU_DEP_3)
	v_mad_u64_u32 v[221:222], null, s12, v25, 0
	v_add_nc_u32_e32 v175, 0x4bf, v24
	v_mov_b32_e32 v165, v187
	s_delay_alu instid0(VALU_DEP_2) | instskip(SKIP_1) | instid1(VALU_DEP_3)
	v_mad_u64_u32 v[194:195], null, s12, v175, 0
	v_add_nc_u32_e32 v174, 0x3cc, v24
	v_mad_u64_u32 v[213:214], null, s13, v171, v[165:166]
	v_dual_mov_b32 v165, v166 :: v_dual_add_nc_u32 v168, 0x4bf, v198
	s_delay_alu instid0(VALU_DEP_3)
	v_mad_u64_u32 v[192:193], null, s12, v174, 0
	v_add_nc_u32_e32 v172, 0x1e6, v24
	v_add_nc_u32_e32 v24, 0xf3, v198
	v_mov_b32_e32 v166, v201
	v_lshlrev_b64 v[164:165], 4, v[164:165]
	v_mov_b32_e32 v187, v193
	v_mad_u64_u32 v[188:189], null, s12, v172, 0
	v_add_nc_u32_e32 v206, 0xbd, v202
	s_delay_alu instid0(VALU_DEP_4) | instskip(NEXT) | instid1(VALU_DEP_1)
	v_add_co_u32 v164, s1, v204, v164
	v_add_co_ci_u32_e64 v165, s1, v205, v165, s1
	s_delay_alu instid0(VALU_DEP_4) | instskip(SKIP_2) | instid1(VALU_DEP_3)
	v_mov_b32_e32 v167, v189
	v_mov_b32_e32 v189, v195
	v_cmp_gt_u32_e32 vcc_lo, 0xf3, v206
	v_mad_u64_u32 v[214:215], null, s13, v172, v[167:168]
	v_add_nc_u32_e32 v170, 0xf3, v199
	v_mad_u64_u32 v[215:216], null, s13, v173, v[184:185]
	v_mad_u64_u32 v[216:217], null, s13, v174, v[187:188]
	v_mov_b32_e32 v184, v222
	v_mad_u64_u32 v[217:218], null, s13, v175, v[189:190]
	v_mov_b32_e32 v189, v214
	v_mad_u64_u32 v[231:232], null, s12, v170, 0
	v_mov_b32_e32 v167, v212
	v_add_nc_u32_e32 v27, 0x3cc, v198
	v_mov_b32_e32 v187, v213
	v_mad_u64_u32 v[218:219], null, s13, v176, v[191:192]
	s_delay_alu instid0(VALU_DEP_4)
	v_mad_u64_u32 v[212:213], null, s13, v198, v[166:167]
	v_mad_u64_u32 v[213:214], null, s13, v199, v[167:168]
	v_dual_mov_b32 v214, v232 :: v_dual_add_nc_u32 v251, 0x5b2, v199
	v_mad_u64_u32 v[219:220], null, s12, v24, 0
	v_mad_u64_u32 v[225:226], null, s12, v27, 0
	v_mad_u64_u32 v[227:228], null, s12, v168, 0
	v_dual_mov_b32 v191, v215 :: v_dual_add_nc_u32 v178, 0x2d9, v199
	v_dual_mov_b32 v193, v216 :: v_dual_add_nc_u32 v250, 0x4bf, v199
	v_mad_u64_u32 v[241:242], null, s12, v251, 0
	v_dual_mov_b32 v166, v220 :: v_dual_mov_b32 v167, v226
	v_add_nc_u32_e32 v179, 0x3cc, v199
	v_mad_u64_u32 v[235:236], null, s12, v178, 0
	v_add_nc_u32_e32 v169, 0x5b2, v198
	v_mad_u64_u32 v[239:240], null, s12, v250, 0
	v_dual_mov_b32 v198, v224 :: v_dual_add_nc_u32 v177, 0x1e6, v199
	v_dual_mov_b32 v199, v228 :: v_dual_mov_b32 v220, v242
	v_mad_u64_u32 v[242:243], null, s13, v24, v[166:167]
	v_mad_u64_u32 v[243:244], null, s13, v25, v[184:185]
	s_delay_alu instid0(VALU_DEP_3) | instskip(SKIP_2) | instid1(VALU_DEP_4)
	v_mad_u64_u32 v[244:245], null, s13, v26, v[198:199]
	v_dual_mov_b32 v197, v218 :: v_dual_mov_b32 v218, v240
	v_mad_u64_u32 v[233:234], null, s12, v177, 0
	v_mov_b32_e32 v222, v243
	v_mad_u64_u32 v[237:238], null, s12, v179, 0
	v_mov_b32_e32 v224, v244
	v_mad_u64_u32 v[245:246], null, s13, v27, v[167:168]
	v_dual_mov_b32 v215, v234 :: v_dual_mov_b32 v216, v236
	v_mad_u64_u32 v[229:230], null, s12, v169, 0
	v_mov_b32_e32 v195, v217
	s_delay_alu instid0(VALU_DEP_4)
	v_dual_mov_b32 v217, v238 :: v_dual_mov_b32 v226, v245
	v_mad_u64_u32 v[246:247], null, s13, v168, v[199:200]
	v_mad_u64_u32 v[247:248], null, s13, v170, v[214:215]
	v_mov_b32_e32 v201, v230
	v_mad_u64_u32 v[248:249], null, s13, v177, v[215:216]
	v_mad_u64_u32 v[214:215], null, s13, v178, v[216:217]
	;; [unrolled: 1-line block ×3, first 2 shown]
	v_mov_b32_e32 v232, v247
	v_mad_u64_u32 v[198:199], null, s13, v169, v[201:202]
	v_mad_u64_u32 v[216:217], null, s13, v250, v[218:219]
	v_dual_mov_b32 v201, v212 :: v_dual_mov_b32 v228, v246
	v_mov_b32_e32 v212, v213
	v_mad_u64_u32 v[217:218], null, s13, v251, v[220:221]
	v_mov_b32_e32 v220, v242
	v_mov_b32_e32 v236, v214
	v_mov_b32_e32 v230, v198
	v_mov_b32_e32 v234, v248
	v_mov_b32_e32 v238, v215
	v_mov_b32_e32 v240, v216
	v_mov_b32_e32 v242, v217
	v_lshlrev_b64 v[166:167], 4, v[186:187]
	v_lshlrev_b64 v[186:187], 4, v[188:189]
	;; [unrolled: 1-line block ×8, first 2 shown]
	v_add_co_u32 v166, s1, v204, v166
	s_delay_alu instid0(VALU_DEP_1) | instskip(SKIP_1) | instid1(VALU_DEP_1)
	v_add_co_ci_u32_e64 v167, s1, v205, v167, s1
	v_add_co_u32 v186, s1, v204, v186
	v_add_co_ci_u32_e64 v187, s1, v205, v187, s1
	v_add_co_u32 v188, s1, v204, v188
	s_delay_alu instid0(VALU_DEP_1) | instskip(SKIP_1) | instid1(VALU_DEP_1)
	v_add_co_ci_u32_e64 v189, s1, v205, v189, s1
	v_add_co_u32 v190, s1, v204, v190
	v_add_co_ci_u32_e64 v191, s1, v205, v191, s1
	v_add_co_u32 v192, s1, v204, v192
	s_delay_alu instid0(VALU_DEP_1)
	v_add_co_ci_u32_e64 v193, s1, v205, v193, s1
	v_add_co_u32 v194, s1, v204, v194
	v_lshlrev_b64 v[211:212], 4, v[211:212]
	v_add_co_ci_u32_e64 v195, s1, v205, v195, s1
	s_waitcnt vmcnt(17)
	v_mul_f64 v[213:214], v[94:95], v[98:99]
	v_mul_f64 v[243:244], v[70:71], v[98:99]
	v_lshlrev_b64 v[98:99], 4, v[200:201]
	s_waitcnt vmcnt(16)
	v_mul_f64 v[215:216], v[80:81], v[154:155]
	v_mul_f64 v[245:246], v[56:57], v[154:155]
	v_lshlrev_b64 v[200:201], 4, v[219:220]
	v_lshlrev_b64 v[154:155], 4, v[225:226]
	s_waitcnt vmcnt(15)
	v_mul_f64 v[217:218], v[12:13], v[150:151]
	v_mul_f64 v[247:248], v[254:255], v[150:151]
	s_waitcnt vmcnt(14)
	v_mul_f64 v[219:220], v[74:75], v[146:147]
	s_waitcnt vmcnt(11)
	v_mul_f64 v[249:250], v[92:93], v[118:119]
	v_mul_f64 v[251:252], v[68:69], v[118:119]
	s_waitcnt vmcnt(10)
	v_mul_f64 v[172:173], v[66:67], v[110:111]
	s_waitcnt vmcnt(9)
	;; [unrolled: 2-line block ×3, first 2 shown]
	v_mul_f64 v[168:169], v[62:63], v[134:135]
	v_mul_f64 v[221:222], v[50:51], v[146:147]
	v_lshlrev_b64 v[150:151], 4, v[227:228]
	v_lshlrev_b64 v[146:147], 4, v[229:230]
	v_mul_f64 v[223:224], v[52:53], v[122:123]
	v_mul_f64 v[225:226], v[76:77], v[122:123]
	;; [unrolled: 1-line block ×6, first 2 shown]
	s_waitcnt vmcnt(7)
	v_mul_f64 v[134:135], v[64:65], v[130:131]
	v_mul_f64 v[24:25], v[88:89], v[130:131]
	s_waitcnt vmcnt(6)
	v_mul_f64 v[26:27], v[58:59], v[142:143]
	s_waitcnt vmcnt(5)
	v_mul_f64 v[170:171], v[60:61], v[138:139]
	s_waitcnt lgkmcnt(0)
	v_mul_f64 v[174:175], v[182:183], v[114:115]
	v_add_co_u32 v98, s1, v204, v98
	s_delay_alu instid0(VALU_DEP_1)
	v_add_co_ci_u32_e64 v99, s1, v205, v99, s1
	v_fma_f64 v[110:111], v[70:71], v[96:97], -v[213:214]
	v_fma_f64 v[94:95], v[94:95], v[96:97], v[243:244]
	s_waitcnt vmcnt(4)
	v_mul_f64 v[213:214], v[54:55], v[209:210]
	v_mul_f64 v[243:244], v[82:83], v[142:143]
	v_fma_f64 v[118:119], v[56:57], v[152:153], -v[215:216]
	v_fma_f64 v[80:81], v[80:81], v[152:153], v[245:246]
	v_mul_f64 v[152:153], v[78:79], v[209:210]
	v_mul_f64 v[209:210], v[84:85], v[138:139]
	v_fma_f64 v[126:127], v[38:39], v[148:149], -v[217:218]
	v_fma_f64 v[96:97], v[12:13], v[148:149], v[247:248]
	s_waitcnt vmcnt(3)
	v_mul_f64 v[148:149], v[72:73], v[158:159]
	s_waitcnt vmcnt(2)
	v_mul_f64 v[215:216], v[46:47], v[162:163]
	v_fma_f64 v[122:123], v[50:51], v[144:145], -v[219:220]
	v_mul_f64 v[162:163], v[34:35], v[162:163]
	v_mul_f64 v[158:159], v[48:49], v[158:159]
	s_waitcnt vmcnt(1)
	v_mul_f64 v[142:143], v[42:43], v[102:103]
	s_waitcnt vmcnt(0)
	v_mul_f64 v[138:139], v[44:45], v[106:107]
	v_mul_f64 v[217:218], v[32:33], v[106:107]
	;; [unrolled: 1-line block ×3, first 2 shown]
	v_fma_f64 v[102:103], v[68:69], v[116:117], -v[249:250]
	v_fma_f64 v[68:69], v[92:93], v[116:117], v[251:252]
	v_fma_f64 v[90:91], v[90:91], v[108:109], v[172:173]
	;; [unrolled: 1-line block ×6, first 2 shown]
	v_fma_f64 v[120:121], v[52:53], v[120:121], -v[225:226]
	v_fma_f64 v[130:131], v[28:29], v[124:125], -v[227:228]
	v_fma_f64 v[124:125], v[40:41], v[124:125], v[229:230]
	v_fma_f64 v[106:107], v[66:67], v[108:109], -v[253:254]
	v_fma_f64 v[108:109], v[62:63], v[132:133], -v[178:179]
	v_fma_f64 v[40:41], v[88:89], v[128:129], v[134:135]
	v_fma_f64 v[66:67], v[64:65], v[128:129], -v[24:25]
	v_fma_f64 v[52:53], v[82:83], v[140:141], v[26:27]
	v_fma_f64 v[62:63], v[84:85], v[136:137], v[170:171]
	v_add_co_u32 v28, s1, v204, v211
	s_delay_alu instid0(VALU_DEP_1)
	v_add_co_ci_u32_e64 v29, s1, v205, v212, s1
	v_fma_f64 v[112:113], v[180:181], v[112:113], -v[174:175]
	v_fma_f64 v[64:65], v[78:79], v[207:208], v[213:214]
	v_fma_f64 v[58:59], v[58:59], v[140:141], -v[243:244]
	v_lshlrev_b64 v[74:75], 4, v[231:232]
	v_lshlrev_b64 v[70:71], 4, v[233:234]
	v_fma_f64 v[54:55], v[54:55], v[207:208], -v[152:153]
	v_fma_f64 v[60:61], v[60:61], v[136:137], -v[209:210]
	v_add_f64 v[82:83], v[126:127], v[118:119]
	v_add_f64 v[88:89], v[126:127], -v[118:119]
	v_fma_f64 v[24:25], v[48:49], v[156:157], -v[148:149]
	v_fma_f64 v[26:27], v[34:35], v[160:161], -v[215:216]
	v_add_co_u32 v34, s1, v204, v200
	v_fma_f64 v[46:47], v[46:47], v[160:161], v[162:163]
	v_fma_f64 v[48:49], v[72:73], v[156:157], v[158:159]
	v_fma_f64 v[30:31], v[30:31], v[100:101], -v[142:143]
	v_fma_f64 v[32:33], v[32:33], v[104:105], -v[138:139]
	v_fma_f64 v[44:45], v[44:45], v[104:105], v[217:218]
	v_add_f64 v[72:73], v[96:97], v[80:81]
	v_fma_f64 v[42:43], v[42:43], v[100:101], v[219:220]
	v_add_f64 v[80:81], v[96:97], -v[80:81]
	v_add_f64 v[104:105], v[90:91], v[92:93]
	v_add_f64 v[116:117], v[68:69], v[86:87]
	v_add_co_ci_u32_e64 v35, s1, v205, v201, s1
	v_add_f64 v[78:79], v[76:77], v[114:115]
	v_add_f64 v[84:85], v[120:121], v[122:123]
	v_add_f64 v[120:121], v[120:121], -v[122:123]
	v_add_f64 v[122:123], v[124:125], v[94:95]
	v_add_f64 v[126:127], v[102:103], v[108:109]
	v_add_f64 v[94:95], v[124:125], -v[94:95]
	v_add_f64 v[76:77], v[76:77], -v[114:115]
	v_add_f64 v[96:97], v[40:41], v[52:53]
	v_add_f64 v[102:103], v[102:103], -v[108:109]
	v_add_co_u32 v132, s1, v204, v198
	s_delay_alu instid0(VALU_DEP_1)
	v_add_co_ci_u32_e64 v133, s1, v205, v199, s1
	v_add_co_u32 v134, s1, v204, v196
	v_add_f64 v[124:125], v[64:65], v[62:63]
	v_add_f64 v[114:115], v[66:67], v[58:59]
	v_add_f64 v[58:59], v[66:67], -v[58:59]
	v_add_co_ci_u32_e64 v135, s1, v205, v197, s1
	v_add_co_u32 v136, s1, v204, v154
	v_add_f64 v[100:101], v[130:131], -v[110:111]
	v_add_f64 v[128:129], v[54:55], v[60:61]
	v_add_co_ci_u32_e64 v137, s1, v205, v155, s1
	v_add_f64 v[54:55], v[54:55], -v[60:61]
	v_add_f64 v[108:109], v[48:49], v[46:47]
	v_add_f64 v[46:47], v[48:49], -v[46:47]
	v_add_f64 v[66:67], v[30:31], -v[32:33]
	v_add_f64 v[30:31], v[30:31], v[32:33]
	v_add_f64 v[48:49], v[68:69], -v[86:87]
	v_add_f64 v[60:61], v[42:43], v[44:45]
	v_add_f64 v[42:43], v[42:43], -v[44:45]
	v_add_f64 v[44:45], v[64:65], -v[62:63]
	v_add_f64 v[32:33], v[104:105], v[116:117]
	v_add_f64 v[52:53], v[40:41], -v[52:53]
	v_add_f64 v[118:119], v[106:107], v[112:113]
	v_add_f64 v[68:69], v[72:73], v[78:79]
	v_add_f64 v[106:107], v[106:107], -v[112:113]
	v_add_f64 v[112:113], v[24:25], -v[26:27]
	v_add_f64 v[24:25], v[24:25], v[26:27]
	v_add_f64 v[26:27], v[90:91], -v[92:93]
	v_add_f64 v[92:93], v[72:73], -v[122:123]
	v_add_f64 v[110:111], v[130:131], v[110:111]
	v_add_f64 v[86:87], v[82:83], v[84:85]
	v_add_f64 v[142:143], v[80:81], -v[94:95]
	v_add_f64 v[152:153], v[94:95], -v[76:77]
	v_add_f64 v[94:95], v[94:95], v[76:77]
	v_add_f64 v[76:77], v[76:77], -v[80:81]
	v_add_f64 v[72:73], v[78:79], -v[72:73]
	v_lshlrev_b64 v[56:57], 4, v[235:236]
	v_lshlrev_b64 v[50:51], 4, v[237:238]
	v_add_f64 v[138:139], v[96:97], v[124:125]
	v_lshlrev_b64 v[144:145], 4, v[239:240]
	v_lshlrev_b64 v[221:222], 4, v[241:242]
	v_add_f64 v[62:63], v[88:89], -v[100:101]
	v_add_f64 v[64:65], v[100:101], -v[120:121]
	v_add_f64 v[90:91], v[100:101], v[120:121]
	v_add_f64 v[100:101], v[122:123], -v[78:79]
	v_add_f64 v[148:149], v[114:115], v[128:129]
	v_add_f64 v[154:155], v[104:105], -v[108:109]
	v_add_f64 v[156:157], v[108:109], -v[116:117]
	;; [unrolled: 1-line block ×8, first 2 shown]
	v_add_f64 v[108:109], v[108:109], v[32:33]
	v_add_f64 v[168:169], v[44:45], -v[52:53]
	v_add_f64 v[40:41], v[118:119], v[126:127]
	v_add_f64 v[68:69], v[122:123], v[68:69]
	v_add_f64 v[122:123], v[42:43], -v[44:45]
	v_add_f64 v[44:45], v[42:43], v[44:45]
	v_add_f64 v[158:159], v[118:119], -v[24:25]
	v_add_f64 v[160:161], v[24:25], -v[126:127]
	;; [unrolled: 1-line block ×5, first 2 shown]
	v_add_f64 v[86:87], v[110:111], v[86:87]
	v_add_f64 v[110:111], v[46:47], -v[48:49]
	v_add_f64 v[46:47], v[46:47], v[48:49]
	v_add_f64 v[48:49], v[48:49], -v[26:27]
	v_add_f64 v[82:83], v[106:107], -v[112:113]
	;; [unrolled: 1-line block ×3, first 2 shown]
	v_add_f64 v[112:113], v[112:113], v[102:103]
	v_add_f64 v[60:61], v[60:61], v[138:139]
	v_add_f64 v[138:139], v[52:53], -v[42:43]
	v_add_f64 v[102:103], v[102:103], -v[106:107]
	v_add_f64 v[116:117], v[126:127], -v[118:119]
	v_add_f64 v[118:119], v[66:67], -v[54:55]
	v_add_f64 v[126:127], v[54:55], -v[58:59]
	v_add_f64 v[54:55], v[66:67], v[54:55]
	v_add_f64 v[66:67], v[30:31], -v[128:129]
	v_add_f64 v[176:177], v[114:115], -v[30:31]
	v_mul_f64 v[64:65], v[64:65], s[22:23]
	v_mul_f64 v[100:101], v[100:101], s[24:25]
	v_add_f64 v[148:149], v[30:31], v[148:149]
	v_mul_f64 v[152:153], v[152:153], s[22:23]
	v_mul_f64 v[180:181], v[92:93], s[26:27]
	;; [unrolled: 1-line block ×4, first 2 shown]
	v_add_f64 v[96:97], v[124:125], -v[96:97]
	v_add_f64 v[114:115], v[128:129], -v[114:115]
	v_add_f64 v[88:89], v[88:89], v[90:91]
	v_add_f64 v[80:81], v[80:81], v[94:95]
	v_add_f64 v[42:43], v[8:9], v[108:109]
	scratch_load_b64 v[8:9], off, off offset:64 ; 8-byte Folded Reload
	v_add_f64 v[24:25], v[24:25], v[40:41]
	v_add_f64 v[32:33], v[10:11], v[68:69]
	v_mul_f64 v[90:91], v[156:157], s[24:25]
	v_mul_f64 v[124:125], v[154:155], s[26:27]
	;; [unrolled: 1-line block ×3, first 2 shown]
	v_add_f64 v[52:53], v[52:53], v[44:45]
	v_mul_f64 v[198:199], v[158:159], s[26:27]
	v_mul_f64 v[182:183], v[130:131], s[26:27]
	;; [unrolled: 1-line block ×3, first 2 shown]
	v_add_f64 v[30:31], v[36:37], v[86:87]
	v_mul_f64 v[36:37], v[160:161], s[24:25]
	v_add_f64 v[26:27], v[26:27], v[46:47]
	v_mul_f64 v[94:95], v[110:111], s[22:23]
	v_mul_f64 v[160:161], v[170:171], s[24:25]
	;; [unrolled: 1-line block ×3, first 2 shown]
	v_add_f64 v[106:107], v[106:107], v[112:113]
	v_mul_f64 v[170:171], v[174:175], s[26:27]
	v_mul_f64 v[128:129], v[48:49], s[18:19]
	;; [unrolled: 1-line block ×5, first 2 shown]
	v_add_f64 v[54:55], v[58:59], v[54:55]
	v_mul_f64 v[66:67], v[66:67], s[24:25]
	v_mul_f64 v[58:59], v[176:177], s[26:27]
	v_mul_f64 v[122:123], v[126:127], s[18:19]
	v_fma_f64 v[200:201], v[62:63], s[6:7], v[64:65]
	v_fma_f64 v[92:93], v[92:93], s[26:27], v[100:101]
	;; [unrolled: 1-line block ×3, first 2 shown]
	v_fma_f64 v[76:77], v[76:77], s[18:19], -v[152:153]
	v_fma_f64 v[62:63], v[62:63], s[16:17], -v[178:179]
	;; [unrolled: 1-line block ×6, first 2 shown]
	v_fma_f64 v[108:109], v[108:109], s[8:9], v[42:43]
	v_fma_f64 v[68:69], v[68:69], s[8:9], v[32:33]
	v_fma_f64 v[120:121], v[154:155], s[26:27], v[90:91]
	v_fma_f64 v[90:91], v[104:105], s[20:21], -v[90:91]
	v_fma_f64 v[180:181], v[78:79], s[14:15], -v[182:183]
	v_fma_f64 v[130:131], v[130:131], s[26:27], v[140:141]
	v_fma_f64 v[78:79], v[78:79], s[20:21], -v[140:141]
	v_fma_f64 v[86:87], v[86:87], s[8:9], v[30:31]
	v_fma_f64 v[140:141], v[158:159], s[26:27], v[36:37]
	;; [unrolled: 1-line block ×3, first 2 shown]
	v_fma_f64 v[36:37], v[116:117], s[20:21], -v[36:37]
	v_fma_f64 v[100:101], v[82:83], s[6:7], v[84:85]
	v_fma_f64 v[84:85], v[102:103], s[18:19], -v[84:85]
	v_fma_f64 v[48:49], v[48:49], s[18:19], -v[94:95]
	;; [unrolled: 1-line block ×5, first 2 shown]
	v_fma_f64 v[102:103], v[172:173], s[6:7], v[112:113]
	v_fma_f64 v[104:105], v[138:139], s[6:7], v[118:119]
	v_fma_f64 v[124:125], v[138:139], s[16:17], -v[156:157]
	v_fma_f64 v[138:139], v[174:175], s[26:27], v[160:161]
	v_fma_f64 v[154:155], v[176:177], s[26:27], v[66:67]
	v_fma_f64 v[58:59], v[114:115], s[14:15], -v[58:59]
	v_fma_f64 v[66:67], v[114:115], s[20:21], -v[66:67]
	;; [unrolled: 1-line block ×7, first 2 shown]
	v_fma_f64 v[94:95], v[88:89], s[2:3], v[200:201]
	v_fma_f64 v[142:143], v[80:81], s[2:3], v[142:143]
	;; [unrolled: 1-line block ×5, first 2 shown]
	scratch_load_b64 v[182:183], off, off offset:8 ; 8-byte Folded Reload
	v_add_f64 v[158:159], v[180:181], v[86:87]
	v_fma_f64 v[152:153], v[26:27], s[2:3], v[152:153]
	v_fma_f64 v[100:101], v[106:107], s[2:3], v[100:101]
	;; [unrolled: 1-line block ×5, first 2 shown]
	v_add_f64 v[106:107], v[90:91], v[108:109]
	v_fma_f64 v[162:163], v[54:55], s[2:3], v[102:103]
	v_fma_f64 v[168:169], v[52:53], s[2:3], v[104:105]
	v_add_f64 v[104:105], v[120:121], v[108:109]
	v_add_f64 v[102:103], v[110:111], v[108:109]
	v_fma_f64 v[26:27], v[26:27], s[2:3], v[48:49]
	v_fma_f64 v[108:109], v[54:55], s[2:3], v[122:123]
	;; [unrolled: 1-line block ×4, first 2 shown]
	v_add_f64 v[90:91], v[106:107], -v[84:85]
	v_add_f64 v[82:83], v[100:101], v[104:105]
	s_waitcnt vmcnt(1)
	v_add_f64 v[40:41], v[8:9], v[24:25]
	scratch_load_b64 v[8:9], off, off offset:32 ; 8-byte Folded Reload
	v_fma_f64 v[24:25], v[24:25], s[8:9], v[40:41]
	s_delay_alu instid0(VALU_DEP_1)
	v_add_f64 v[120:121], v[140:141], v[24:25]
	v_fma_f64 v[140:141], v[52:53], s[2:3], v[124:125]
	s_waitcnt vmcnt(0)
	v_add_f64 v[46:47], v[8:9], v[60:61]
	scratch_load_b64 v[8:9], off, off offset:56 ; 8-byte Folded Reload
	v_fma_f64 v[60:61], v[60:61], s[8:9], v[46:47]
	s_delay_alu instid0(VALU_DEP_1) | instskip(SKIP_2) | instid1(VALU_DEP_3)
	v_add_f64 v[124:125], v[138:139], v[60:61]
	v_add_f64 v[126:127], v[126:127], v[60:61]
	;; [unrolled: 1-line block ×4, first 2 shown]
	s_delay_alu instid0(VALU_DEP_2)
	v_add_f64 v[122:123], v[112:113], v[96:97]
	v_add_f64 v[118:119], v[96:97], -v[112:113]
	s_waitcnt vmcnt(0)
	v_add_f64 v[44:45], v[8:9], v[148:149]
	scratch_load_b128 v[8:11], off, off offset:16 ; 16-byte Folded Reload
	v_fma_f64 v[114:115], v[148:149], s[8:9], v[44:45]
	v_add_co_u32 v148, s1, v204, v150
	s_delay_alu instid0(VALU_DEP_1)
	v_add_co_ci_u32_e64 v149, s1, v205, v151, s1
	v_fma_f64 v[150:151], v[116:117], s[14:15], -v[198:199]
	v_fma_f64 v[116:117], v[80:81], s[2:3], v[207:208]
	v_add_f64 v[80:81], v[92:93], v[68:69]
	v_add_f64 v[92:93], v[130:131], v[86:87]
	;; [unrolled: 1-line block ×5, first 2 shown]
	v_add_co_u32 v146, s1, v204, v146
	s_delay_alu instid0(VALU_DEP_1)
	v_add_co_ci_u32_e64 v147, s1, v205, v147, s1
	v_add_f64 v[86:87], v[160:161], v[102:103]
	v_add_f64 v[102:103], v[102:103], -v[160:161]
	v_add_f64 v[138:139], v[154:155], v[114:115]
	v_add_f64 v[154:155], v[58:59], v[114:115]
	v_add_f64 v[172:173], v[66:67], v[114:115]
	v_add_f64 v[58:59], v[158:159], -v[142:143]
	v_add_f64 v[114:115], v[108:109], v[126:127]
	v_add_f64 v[48:49], v[150:151], v[24:25]
	;; [unrolled: 1-line block ×3, first 2 shown]
	v_add_co_u32 v36, s1, v204, v74
	v_add_f64 v[78:79], v[80:81], -v[94:95]
	v_add_co_ci_u32_e64 v37, s1, v205, v75, s1
	v_add_f64 v[62:63], v[76:77], v[72:73]
	v_add_f64 v[66:67], v[72:73], -v[76:77]
	v_add_f64 v[76:77], v[116:117], v[92:93]
	v_add_f64 v[74:75], v[130:131], -v[156:157]
	v_add_f64 v[72:73], v[142:143], v[158:159]
	v_add_f64 v[64:65], v[68:69], -v[88:89]
	v_add_f64 v[68:69], v[88:89], v[68:69]
	v_add_f64 v[60:61], v[156:157], v[130:131]
	;; [unrolled: 1-line block ×3, first 2 shown]
	v_add_f64 v[52:53], v[92:93], -v[116:117]
	v_add_f64 v[130:131], v[124:125], -v[162:163]
	;; [unrolled: 1-line block ×4, first 2 shown]
	v_add_f64 v[94:95], v[84:85], v[106:107]
	v_add_f64 v[106:107], v[104:105], -v[100:101]
	v_add_f64 v[104:105], v[152:153], v[120:121]
	v_add_f64 v[128:129], v[168:169], v[138:139]
	;; [unrolled: 1-line block ×3, first 2 shown]
	v_add_f64 v[120:121], v[172:173], -v[170:171]
	v_add_f64 v[116:117], v[170:171], v[172:173]
	v_add_f64 v[112:113], v[154:155], -v[140:141]
	v_add_f64 v[108:109], v[138:139], -v[168:169]
	v_add_f64 v[100:101], v[174:175], v[48:49]
	v_add_f64 v[92:93], v[24:25], -v[26:27]
	s_clause 0xd
	global_store_b128 v[164:165], v[30:33], off
	global_store_b128 v[166:167], v[76:79], off
	;; [unrolled: 1-line block ×14, first 2 shown]
	s_clause 0x1
	scratch_load_b128 v[12:15], off, off offset:40
	scratch_load_b64 v[60:61], off, off
	v_add_f64 v[88:89], v[26:27], v[24:25]
	v_add_f64 v[84:85], v[48:49], -v[174:175]
	v_add_co_u32 v24, s1, v204, v70
	s_delay_alu instid0(VALU_DEP_1) | instskip(SKIP_1) | instid1(VALU_DEP_1)
	v_add_co_ci_u32_e64 v25, s1, v205, v71, s1
	v_add_co_u32 v26, s1, v204, v56
	v_add_co_ci_u32_e64 v27, s1, v205, v57, s1
	v_add_co_u32 v48, s1, v204, v50
	s_delay_alu instid0(VALU_DEP_1) | instskip(SKIP_1) | instid1(VALU_DEP_1)
	v_add_co_ci_u32_e64 v49, s1, v205, v51, s1
	v_add_co_u32 v50, s1, v204, v144
	v_add_co_ci_u32_e64 v51, s1, v205, v145, s1
	v_add_co_u32 v38, s1, v204, v221
	s_delay_alu instid0(VALU_DEP_1)
	v_add_co_ci_u32_e64 v39, s1, v205, v222, s1
	s_clause 0x6
	global_store_b128 v[28:29], v[40:43], off
	global_store_b128 v[36:37], v[104:107], off
	;; [unrolled: 1-line block ×7, first 2 shown]
	s_and_b32 exec_lo, exec_lo, vcc_lo
	s_cbranch_execz .LBB0_20
; %bb.19:
	v_subrev_nc_u32_e32 v24, 54, v202
	s_delay_alu instid0(VALU_DEP_1) | instskip(NEXT) | instid1(VALU_DEP_1)
	v_cndmask_b32_e64 v24, v24, v203, s0
	v_mul_i32_i24_e32 v184, 6, v24
	s_delay_alu instid0(VALU_DEP_1) | instskip(NEXT) | instid1(VALU_DEP_1)
	v_lshlrev_b64 v[24:25], 4, v[184:185]
	v_add_co_u32 v44, vcc_lo, s4, v24
	s_delay_alu instid0(VALU_DEP_2)
	v_add_co_ci_u32_e32 v45, vcc_lo, s5, v25, vcc_lo
	s_clause 0x5
	global_load_b128 v[24:27], v[44:45], off offset:3840
	global_load_b128 v[28:31], v[44:45], off offset:3856
	global_load_b128 v[32:35], v[44:45], off offset:3920
	global_load_b128 v[36:39], v[44:45], off offset:3904
	global_load_b128 v[40:43], v[44:45], off offset:3872
	global_load_b128 v[44:47], v[44:45], off offset:3888
	s_waitcnt vmcnt(5)
	v_mul_f64 v[48:49], v[16:17], v[26:27]
	v_mul_f64 v[26:27], v[4:5], v[26:27]
	s_waitcnt vmcnt(4)
	v_mul_f64 v[50:51], v[18:19], v[30:31]
	v_mul_f64 v[30:31], v[6:7], v[30:31]
	s_waitcnt vmcnt(3)
	v_mul_f64 v[52:53], v[22:23], v[34:35]
	v_mul_f64 v[34:35], v[10:11], v[34:35]
	s_waitcnt vmcnt(2)
	v_mul_f64 v[54:55], v[20:21], v[38:39]
	v_mul_f64 v[38:39], v[8:9], v[38:39]
	s_waitcnt vmcnt(1)
	v_mul_f64 v[56:57], v[12:13], v[42:43]
	v_mul_f64 v[42:43], v[0:1], v[42:43]
	s_waitcnt vmcnt(0)
	v_mul_f64 v[58:59], v[14:15], v[46:47]
	v_mul_f64 v[46:47], v[2:3], v[46:47]
	v_fma_f64 v[4:5], v[4:5], v[24:25], -v[48:49]
	v_fma_f64 v[16:17], v[16:17], v[24:25], v[26:27]
	v_fma_f64 v[6:7], v[6:7], v[28:29], -v[50:51]
	v_fma_f64 v[18:19], v[18:19], v[28:29], v[30:31]
	;; [unrolled: 2-line block ×6, first 2 shown]
	v_add_nc_u32_e32 v56, 0x1b0, v202
	v_add_nc_u32_e32 v57, 0x2a3, v202
	;; [unrolled: 1-line block ×4, first 2 shown]
	v_add_f64 v[24:25], v[4:5], v[10:11]
	v_add_f64 v[26:27], v[16:17], v[22:23]
	;; [unrolled: 1-line block ×4, first 2 shown]
	v_add_f64 v[6:7], v[6:7], -v[8:9]
	v_add_f64 v[8:9], v[18:19], -v[20:21]
	v_add_f64 v[18:19], v[0:1], v[2:3]
	v_add_f64 v[20:21], v[12:13], v[14:15]
	v_add_f64 v[0:1], v[2:3], -v[0:1]
	v_add_f64 v[2:3], v[14:15], -v[12:13]
	v_add_f64 v[4:5], v[4:5], -v[10:11]
	v_add_f64 v[10:11], v[16:17], -v[22:23]
	v_add_f64 v[12:13], v[28:29], v[24:25]
	v_add_f64 v[14:15], v[30:31], v[26:27]
	v_add_f64 v[16:17], v[24:25], -v[18:19]
	v_add_f64 v[22:23], v[26:27], -v[20:21]
	;; [unrolled: 1-line block ×6, first 2 shown]
	v_add_f64 v[6:7], v[0:1], v[6:7]
	v_add_f64 v[8:9], v[2:3], v[8:9]
	v_add_f64 v[40:41], v[4:5], -v[0:1]
	v_add_f64 v[42:43], v[10:11], -v[2:3]
	;; [unrolled: 1-line block ×4, first 2 shown]
	v_add_f64 v[12:13], v[18:19], v[12:13]
	v_add_f64 v[14:15], v[20:21], v[14:15]
	v_add_f64 v[18:19], v[18:19], -v[28:29]
	v_add_f64 v[20:21], v[20:21], -v[30:31]
	v_mul_f64 v[16:17], v[16:17], s[26:27]
	v_mul_f64 v[22:23], v[22:23], s[26:27]
	;; [unrolled: 1-line block ×6, first 2 shown]
	v_add_f64 v[4:5], v[6:7], v[4:5]
	v_add_f64 v[6:7], v[8:9], v[10:11]
	;; [unrolled: 1-line block ×4, first 2 shown]
	v_mul_f64 v[28:29], v[18:19], s[24:25]
	v_mul_f64 v[30:31], v[20:21], s[24:25]
	v_fma_f64 v[8:9], v[18:19], s[24:25], v[16:17]
	v_fma_f64 v[10:11], v[20:21], s[24:25], v[22:23]
	;; [unrolled: 1-line block ×4, first 2 shown]
	v_fma_f64 v[32:33], v[36:37], s[18:19], -v[32:33]
	v_fma_f64 v[34:35], v[38:39], s[18:19], -v[34:35]
	;; [unrolled: 1-line block ×6, first 2 shown]
	v_mad_u64_u32 v[40:41], null, s12, v57, 0
	v_add_nc_u32_e32 v60, 0x57c, v202
	v_add_nc_u32_e32 v61, 0x66f, v202
	v_mad_u64_u32 v[42:43], null, s12, v58, 0
	v_mad_u64_u32 v[44:45], null, s12, v59, 0
	s_delay_alu instid0(VALU_DEP_4) | instskip(NEXT) | instid1(VALU_DEP_4)
	v_mad_u64_u32 v[46:47], null, s12, v60, 0
	v_mad_u64_u32 v[48:49], null, s12, v61, 0
	v_fma_f64 v[12:13], v[12:13], s[8:9], v[0:1]
	v_fma_f64 v[14:15], v[14:15], s[8:9], v[2:3]
	v_fma_f64 v[24:25], v[24:25], s[20:21], -v[28:29]
	v_fma_f64 v[26:27], v[26:27], s[20:21], -v[30:31]
	v_mad_u64_u32 v[28:29], null, s12, v206, 0
	v_fma_f64 v[50:51], v[4:5], s[2:3], v[18:19]
	v_fma_f64 v[52:53], v[6:7], s[2:3], v[20:21]
	;; [unrolled: 1-line block ×6, first 2 shown]
	v_mad_u64_u32 v[30:31], null, s12, v56, 0
	v_dual_mov_b32 v6, v41 :: v_dual_mov_b32 v7, v43
	s_delay_alu instid0(VALU_DEP_2) | instskip(NEXT) | instid1(VALU_DEP_3)
	v_mad_u64_u32 v[4:5], null, s13, v206, v[29:30]
	v_mov_b32_e32 v5, v31
	s_delay_alu instid0(VALU_DEP_2) | instskip(NEXT) | instid1(VALU_DEP_1)
	v_mov_b32_e32 v29, v4
	v_lshlrev_b64 v[28:29], 4, v[28:29]
	v_add_f64 v[36:37], v[8:9], v[12:13]
	v_add_f64 v[38:39], v[10:11], v[14:15]
	v_mov_b32_e32 v10, v49
	v_add_f64 v[54:55], v[16:17], v[12:13]
	v_add_f64 v[22:23], v[22:23], v[14:15]
	;; [unrolled: 1-line block ×4, first 2 shown]
	v_mov_b32_e32 v8, v45
	v_mad_u64_u32 v[11:12], null, s13, v56, v[5:6]
	v_mov_b32_e32 v9, v47
	v_mad_u64_u32 v[12:13], null, s13, v57, v[6:7]
	s_delay_alu instid0(VALU_DEP_4) | instskip(NEXT) | instid1(VALU_DEP_3)
	v_mad_u64_u32 v[5:6], null, s13, v58, v[7:8]
	v_mad_u64_u32 v[6:7], null, s13, v59, v[8:9]
	;; [unrolled: 1-line block ×4, first 2 shown]
	s_delay_alu instid0(VALU_DEP_4)
	v_mov_b32_e32 v43, v5
	v_mov_b32_e32 v31, v11
	;; [unrolled: 1-line block ×5, first 2 shown]
	v_add_co_u32 v28, vcc_lo, v204, v28
	v_mov_b32_e32 v49, v8
	v_lshlrev_b64 v[30:31], 4, v[30:31]
	v_lshlrev_b64 v[40:41], 4, v[40:41]
	v_add_co_ci_u32_e32 v29, vcc_lo, v205, v29, vcc_lo
	v_lshlrev_b64 v[42:43], 4, v[42:43]
	s_delay_alu instid0(VALU_DEP_4)
	v_add_co_u32 v30, vcc_lo, v204, v30
	v_add_co_ci_u32_e32 v31, vcc_lo, v205, v31, vcc_lo
	v_add_f64 v[4:5], v[52:53], v[36:37]
	v_add_f64 v[6:7], v[38:39], -v[50:51]
	v_add_f64 v[8:9], v[34:35], v[54:55]
	v_add_f64 v[10:11], v[22:23], -v[32:33]
	v_add_f64 v[12:13], v[16:17], -v[20:21]
	v_add_f64 v[14:15], v[18:19], v[24:25]
	v_add_f64 v[16:17], v[20:21], v[16:17]
	v_add_f64 v[18:19], v[24:25], -v[18:19]
	v_add_f64 v[20:21], v[54:55], -v[34:35]
	v_add_f64 v[22:23], v[32:33], v[22:23]
	v_add_f64 v[24:25], v[36:37], -v[52:53]
	v_add_f64 v[26:27], v[50:51], v[38:39]
	v_lshlrev_b64 v[32:33], 4, v[44:45]
	v_add_co_u32 v38, vcc_lo, v204, v40
	v_add_co_ci_u32_e32 v39, vcc_lo, v205, v41, vcc_lo
	v_lshlrev_b64 v[34:35], 4, v[46:47]
	v_add_co_u32 v40, vcc_lo, v204, v42
	v_add_co_ci_u32_e32 v41, vcc_lo, v205, v43, vcc_lo
	;; [unrolled: 3-line block ×3, first 2 shown]
	v_add_co_u32 v34, vcc_lo, v204, v34
	v_add_co_ci_u32_e32 v35, vcc_lo, v205, v35, vcc_lo
	v_add_co_u32 v36, vcc_lo, v204, v36
	v_add_co_ci_u32_e32 v37, vcc_lo, v205, v37, vcc_lo
	s_clause 0x6
	global_store_b128 v[28:29], v[0:3], off
	global_store_b128 v[30:31], v[4:7], off
	;; [unrolled: 1-line block ×7, first 2 shown]
.LBB0_20:
	s_endpgm
	.section	.rodata,"a",@progbits
	.p2align	6, 0x0
	.amdhsa_kernel fft_rtc_fwd_len1701_factors_3_3_3_3_3_7_wgs_63_tpt_63_halfLds_dp_op_CI_CI_sbrr_dirReg
		.amdhsa_group_segment_fixed_size 0
		.amdhsa_private_segment_fixed_size 76
		.amdhsa_kernarg_size 104
		.amdhsa_user_sgpr_count 15
		.amdhsa_user_sgpr_dispatch_ptr 0
		.amdhsa_user_sgpr_queue_ptr 0
		.amdhsa_user_sgpr_kernarg_segment_ptr 1
		.amdhsa_user_sgpr_dispatch_id 0
		.amdhsa_user_sgpr_private_segment_size 0
		.amdhsa_wavefront_size32 1
		.amdhsa_uses_dynamic_stack 0
		.amdhsa_enable_private_segment 1
		.amdhsa_system_sgpr_workgroup_id_x 1
		.amdhsa_system_sgpr_workgroup_id_y 0
		.amdhsa_system_sgpr_workgroup_id_z 0
		.amdhsa_system_sgpr_workgroup_info 0
		.amdhsa_system_vgpr_workitem_id 0
		.amdhsa_next_free_vgpr 256
		.amdhsa_next_free_sgpr 31
		.amdhsa_reserve_vcc 1
		.amdhsa_float_round_mode_32 0
		.amdhsa_float_round_mode_16_64 0
		.amdhsa_float_denorm_mode_32 3
		.amdhsa_float_denorm_mode_16_64 3
		.amdhsa_dx10_clamp 1
		.amdhsa_ieee_mode 1
		.amdhsa_fp16_overflow 0
		.amdhsa_workgroup_processor_mode 1
		.amdhsa_memory_ordered 1
		.amdhsa_forward_progress 0
		.amdhsa_shared_vgpr_count 0
		.amdhsa_exception_fp_ieee_invalid_op 0
		.amdhsa_exception_fp_denorm_src 0
		.amdhsa_exception_fp_ieee_div_zero 0
		.amdhsa_exception_fp_ieee_overflow 0
		.amdhsa_exception_fp_ieee_underflow 0
		.amdhsa_exception_fp_ieee_inexact 0
		.amdhsa_exception_int_div_zero 0
	.end_amdhsa_kernel
	.text
.Lfunc_end0:
	.size	fft_rtc_fwd_len1701_factors_3_3_3_3_3_7_wgs_63_tpt_63_halfLds_dp_op_CI_CI_sbrr_dirReg, .Lfunc_end0-fft_rtc_fwd_len1701_factors_3_3_3_3_3_7_wgs_63_tpt_63_halfLds_dp_op_CI_CI_sbrr_dirReg
                                        ; -- End function
	.section	.AMDGPU.csdata,"",@progbits
; Kernel info:
; codeLenInByte = 24160
; NumSgprs: 33
; NumVgprs: 256
; ScratchSize: 76
; MemoryBound: 1
; FloatMode: 240
; IeeeMode: 1
; LDSByteSize: 0 bytes/workgroup (compile time only)
; SGPRBlocks: 4
; VGPRBlocks: 31
; NumSGPRsForWavesPerEU: 33
; NumVGPRsForWavesPerEU: 256
; Occupancy: 5
; WaveLimiterHint : 1
; COMPUTE_PGM_RSRC2:SCRATCH_EN: 1
; COMPUTE_PGM_RSRC2:USER_SGPR: 15
; COMPUTE_PGM_RSRC2:TRAP_HANDLER: 0
; COMPUTE_PGM_RSRC2:TGID_X_EN: 1
; COMPUTE_PGM_RSRC2:TGID_Y_EN: 0
; COMPUTE_PGM_RSRC2:TGID_Z_EN: 0
; COMPUTE_PGM_RSRC2:TIDIG_COMP_CNT: 0
	.text
	.p2alignl 7, 3214868480
	.fill 96, 4, 3214868480
	.type	__hip_cuid_d4c3c440d4a9401b,@object ; @__hip_cuid_d4c3c440d4a9401b
	.section	.bss,"aw",@nobits
	.globl	__hip_cuid_d4c3c440d4a9401b
__hip_cuid_d4c3c440d4a9401b:
	.byte	0                               ; 0x0
	.size	__hip_cuid_d4c3c440d4a9401b, 1

	.ident	"AMD clang version 19.0.0git (https://github.com/RadeonOpenCompute/llvm-project roc-6.4.0 25133 c7fe45cf4b819c5991fe208aaa96edf142730f1d)"
	.section	".note.GNU-stack","",@progbits
	.addrsig
	.addrsig_sym __hip_cuid_d4c3c440d4a9401b
	.amdgpu_metadata
---
amdhsa.kernels:
  - .args:
      - .actual_access:  read_only
        .address_space:  global
        .offset:         0
        .size:           8
        .value_kind:     global_buffer
      - .offset:         8
        .size:           8
        .value_kind:     by_value
      - .actual_access:  read_only
        .address_space:  global
        .offset:         16
        .size:           8
        .value_kind:     global_buffer
      - .actual_access:  read_only
        .address_space:  global
        .offset:         24
        .size:           8
        .value_kind:     global_buffer
      - .actual_access:  read_only
        .address_space:  global
        .offset:         32
        .size:           8
        .value_kind:     global_buffer
      - .offset:         40
        .size:           8
        .value_kind:     by_value
      - .actual_access:  read_only
        .address_space:  global
        .offset:         48
        .size:           8
        .value_kind:     global_buffer
      - .actual_access:  read_only
        .address_space:  global
        .offset:         56
        .size:           8
        .value_kind:     global_buffer
      - .offset:         64
        .size:           4
        .value_kind:     by_value
      - .actual_access:  read_only
        .address_space:  global
        .offset:         72
        .size:           8
        .value_kind:     global_buffer
      - .actual_access:  read_only
        .address_space:  global
        .offset:         80
        .size:           8
        .value_kind:     global_buffer
      - .actual_access:  read_only
        .address_space:  global
        .offset:         88
        .size:           8
        .value_kind:     global_buffer
      - .actual_access:  write_only
        .address_space:  global
        .offset:         96
        .size:           8
        .value_kind:     global_buffer
    .group_segment_fixed_size: 0
    .kernarg_segment_align: 8
    .kernarg_segment_size: 104
    .language:       OpenCL C
    .language_version:
      - 2
      - 0
    .max_flat_workgroup_size: 63
    .name:           fft_rtc_fwd_len1701_factors_3_3_3_3_3_7_wgs_63_tpt_63_halfLds_dp_op_CI_CI_sbrr_dirReg
    .private_segment_fixed_size: 76
    .sgpr_count:     33
    .sgpr_spill_count: 0
    .symbol:         fft_rtc_fwd_len1701_factors_3_3_3_3_3_7_wgs_63_tpt_63_halfLds_dp_op_CI_CI_sbrr_dirReg.kd
    .uniform_work_group_size: 1
    .uses_dynamic_stack: false
    .vgpr_count:     256
    .vgpr_spill_count: 18
    .wavefront_size: 32
    .workgroup_processor_mode: 1
amdhsa.target:   amdgcn-amd-amdhsa--gfx1100
amdhsa.version:
  - 1
  - 2
...

	.end_amdgpu_metadata
